;; amdgpu-corpus repo=ROCm/rocFFT kind=compiled arch=gfx950 opt=O3
	.text
	.amdgcn_target "amdgcn-amd-amdhsa--gfx950"
	.amdhsa_code_object_version 6
	.protected	fft_rtc_back_len1377_factors_17_3_9_3_wgs_51_tpt_51_halfLds_dp_ip_CI_unitstride_sbrr_dirReg ; -- Begin function fft_rtc_back_len1377_factors_17_3_9_3_wgs_51_tpt_51_halfLds_dp_ip_CI_unitstride_sbrr_dirReg
	.globl	fft_rtc_back_len1377_factors_17_3_9_3_wgs_51_tpt_51_halfLds_dp_ip_CI_unitstride_sbrr_dirReg
	.p2align	8
	.type	fft_rtc_back_len1377_factors_17_3_9_3_wgs_51_tpt_51_halfLds_dp_ip_CI_unitstride_sbrr_dirReg,@function
fft_rtc_back_len1377_factors_17_3_9_3_wgs_51_tpt_51_halfLds_dp_ip_CI_unitstride_sbrr_dirReg: ; @fft_rtc_back_len1377_factors_17_3_9_3_wgs_51_tpt_51_halfLds_dp_ip_CI_unitstride_sbrr_dirReg
; %bb.0:
	s_load_dwordx2 s[8:9], s[0:1], 0x50
	s_load_dwordx4 s[4:7], s[0:1], 0x0
	s_load_dwordx2 s[10:11], s[0:1], 0x18
	v_mul_u32_u24_e32 v1, 0x506, v0
	v_add_u32_sdwa v6, s2, v1 dst_sel:DWORD dst_unused:UNUSED_PAD src0_sel:DWORD src1_sel:WORD_1
	v_mov_b32_e32 v4, 0
	s_waitcnt lgkmcnt(0)
	v_cmp_lt_u64_e64 s[2:3], s[6:7], 2
	v_mov_b32_e32 v7, v4
	s_and_b64 vcc, exec, s[2:3]
	v_mov_b64_e32 v[2:3], 0
	s_cbranch_vccnz .LBB0_8
; %bb.1:
	s_load_dwordx2 s[2:3], s[0:1], 0x10
	s_add_u32 s12, s10, 8
	s_addc_u32 s13, s11, 0
	s_mov_b64 s[14:15], 1
	v_mov_b64_e32 v[2:3], 0
	s_waitcnt lgkmcnt(0)
	s_add_u32 s16, s2, 8
	s_addc_u32 s17, s3, 0
.LBB0_2:                                ; =>This Inner Loop Header: Depth=1
	s_load_dwordx2 s[18:19], s[16:17], 0x0
                                        ; implicit-def: $vgpr8_vgpr9
	s_waitcnt lgkmcnt(0)
	v_or_b32_e32 v5, s19, v7
	v_cmp_ne_u64_e32 vcc, 0, v[4:5]
	s_and_saveexec_b64 s[2:3], vcc
	s_xor_b64 s[20:21], exec, s[2:3]
	s_cbranch_execz .LBB0_4
; %bb.3:                                ;   in Loop: Header=BB0_2 Depth=1
	v_cvt_f32_u32_e32 v1, s18
	v_cvt_f32_u32_e32 v5, s19
	s_sub_u32 s2, 0, s18
	s_subb_u32 s3, 0, s19
	v_fmac_f32_e32 v1, 0x4f800000, v5
	v_rcp_f32_e32 v1, v1
	s_nop 0
	v_mul_f32_e32 v1, 0x5f7ffffc, v1
	v_mul_f32_e32 v5, 0x2f800000, v1
	v_trunc_f32_e32 v5, v5
	v_fmac_f32_e32 v1, 0xcf800000, v5
	v_cvt_u32_f32_e32 v5, v5
	v_cvt_u32_f32_e32 v1, v1
	v_mul_lo_u32 v8, s2, v5
	v_mul_hi_u32 v10, s2, v1
	v_mul_lo_u32 v9, s3, v1
	v_add_u32_e32 v10, v10, v8
	v_mul_lo_u32 v12, s2, v1
	v_add_u32_e32 v13, v10, v9
	v_mul_hi_u32 v8, v1, v12
	v_mul_hi_u32 v11, v1, v13
	v_mul_lo_u32 v10, v1, v13
	v_mov_b32_e32 v9, v4
	v_lshl_add_u64 v[8:9], v[8:9], 0, v[10:11]
	v_mul_hi_u32 v11, v5, v12
	v_mul_lo_u32 v12, v5, v12
	v_add_co_u32_e32 v8, vcc, v8, v12
	v_mul_hi_u32 v10, v5, v13
	s_nop 0
	v_addc_co_u32_e32 v8, vcc, v9, v11, vcc
	v_mov_b32_e32 v9, v4
	s_nop 0
	v_addc_co_u32_e32 v11, vcc, 0, v10, vcc
	v_mul_lo_u32 v10, v5, v13
	v_lshl_add_u64 v[8:9], v[8:9], 0, v[10:11]
	v_add_co_u32_e32 v1, vcc, v1, v8
	v_mul_lo_u32 v10, s2, v1
	s_nop 0
	v_addc_co_u32_e32 v5, vcc, v5, v9, vcc
	v_mul_lo_u32 v8, s2, v5
	v_mul_hi_u32 v9, s2, v1
	v_add_u32_e32 v8, v9, v8
	v_mul_lo_u32 v9, s3, v1
	v_add_u32_e32 v12, v8, v9
	v_mul_hi_u32 v14, v5, v10
	v_mul_lo_u32 v15, v5, v10
	v_mul_hi_u32 v9, v1, v12
	v_mul_lo_u32 v8, v1, v12
	v_mul_hi_u32 v10, v1, v10
	v_mov_b32_e32 v11, v4
	v_lshl_add_u64 v[8:9], v[10:11], 0, v[8:9]
	v_add_co_u32_e32 v8, vcc, v8, v15
	v_mul_hi_u32 v13, v5, v12
	s_nop 0
	v_addc_co_u32_e32 v8, vcc, v9, v14, vcc
	v_mul_lo_u32 v10, v5, v12
	s_nop 0
	v_addc_co_u32_e32 v11, vcc, 0, v13, vcc
	v_mov_b32_e32 v9, v4
	v_lshl_add_u64 v[8:9], v[8:9], 0, v[10:11]
	v_add_co_u32_e32 v1, vcc, v1, v8
	v_mul_hi_u32 v10, v6, v1
	s_nop 0
	v_addc_co_u32_e32 v5, vcc, v5, v9, vcc
	v_mad_u64_u32 v[8:9], s[2:3], v6, v5, 0
	v_mov_b32_e32 v11, v4
	v_lshl_add_u64 v[8:9], v[10:11], 0, v[8:9]
	v_mad_u64_u32 v[12:13], s[2:3], v7, v1, 0
	v_add_co_u32_e32 v1, vcc, v8, v12
	v_mad_u64_u32 v[10:11], s[2:3], v7, v5, 0
	s_nop 0
	v_addc_co_u32_e32 v8, vcc, v9, v13, vcc
	v_mov_b32_e32 v9, v4
	s_nop 0
	v_addc_co_u32_e32 v11, vcc, 0, v11, vcc
	v_lshl_add_u64 v[8:9], v[8:9], 0, v[10:11]
	v_mul_lo_u32 v1, s19, v8
	v_mul_lo_u32 v5, s18, v9
	v_mad_u64_u32 v[10:11], s[2:3], s18, v8, 0
	v_add3_u32 v1, v11, v5, v1
	v_sub_u32_e32 v5, v7, v1
	v_mov_b32_e32 v11, s19
	v_sub_co_u32_e32 v14, vcc, v6, v10
	v_lshl_add_u64 v[12:13], v[8:9], 0, 1
	s_nop 0
	v_subb_co_u32_e64 v5, s[2:3], v5, v11, vcc
	v_subrev_co_u32_e64 v10, s[2:3], s18, v14
	v_subb_co_u32_e32 v1, vcc, v7, v1, vcc
	s_nop 0
	v_subbrev_co_u32_e64 v5, s[2:3], 0, v5, s[2:3]
	v_cmp_le_u32_e64 s[2:3], s19, v5
	v_cmp_le_u32_e32 vcc, s19, v1
	s_nop 0
	v_cndmask_b32_e64 v11, 0, -1, s[2:3]
	v_cmp_le_u32_e64 s[2:3], s18, v10
	s_nop 1
	v_cndmask_b32_e64 v10, 0, -1, s[2:3]
	v_cmp_eq_u32_e64 s[2:3], s19, v5
	s_nop 1
	v_cndmask_b32_e64 v5, v11, v10, s[2:3]
	v_lshl_add_u64 v[10:11], v[8:9], 0, 2
	v_cmp_ne_u32_e64 s[2:3], 0, v5
	s_nop 1
	v_cndmask_b32_e64 v5, v13, v11, s[2:3]
	v_cndmask_b32_e64 v11, 0, -1, vcc
	v_cmp_le_u32_e32 vcc, s18, v14
	s_nop 1
	v_cndmask_b32_e64 v13, 0, -1, vcc
	v_cmp_eq_u32_e32 vcc, s19, v1
	s_nop 1
	v_cndmask_b32_e32 v1, v11, v13, vcc
	v_cmp_ne_u32_e32 vcc, 0, v1
	v_cndmask_b32_e64 v1, v12, v10, s[2:3]
	s_nop 0
	v_cndmask_b32_e32 v9, v9, v5, vcc
	v_cndmask_b32_e32 v8, v8, v1, vcc
.LBB0_4:                                ;   in Loop: Header=BB0_2 Depth=1
	s_andn2_saveexec_b64 s[2:3], s[20:21]
	s_cbranch_execz .LBB0_6
; %bb.5:                                ;   in Loop: Header=BB0_2 Depth=1
	v_cvt_f32_u32_e32 v1, s18
	s_sub_i32 s20, 0, s18
	v_rcp_iflag_f32_e32 v1, v1
	s_nop 0
	v_mul_f32_e32 v1, 0x4f7ffffe, v1
	v_cvt_u32_f32_e32 v1, v1
	v_mul_lo_u32 v5, s20, v1
	v_mul_hi_u32 v5, v1, v5
	v_add_u32_e32 v1, v1, v5
	v_mul_hi_u32 v1, v6, v1
	v_mul_lo_u32 v5, v1, s18
	v_sub_u32_e32 v5, v6, v5
	v_add_u32_e32 v8, 1, v1
	v_subrev_u32_e32 v9, s18, v5
	v_cmp_le_u32_e32 vcc, s18, v5
	s_nop 1
	v_cndmask_b32_e32 v5, v5, v9, vcc
	v_cndmask_b32_e32 v1, v1, v8, vcc
	v_add_u32_e32 v8, 1, v1
	v_cmp_le_u32_e32 vcc, s18, v5
	v_mov_b32_e32 v9, v4
	s_nop 0
	v_cndmask_b32_e32 v8, v1, v8, vcc
.LBB0_6:                                ;   in Loop: Header=BB0_2 Depth=1
	s_or_b64 exec, exec, s[2:3]
	v_mad_u64_u32 v[10:11], s[2:3], v8, s18, 0
	s_load_dwordx2 s[2:3], s[12:13], 0x0
	v_mul_lo_u32 v1, v9, s18
	v_mul_lo_u32 v5, v8, s19
	v_add3_u32 v1, v11, v5, v1
	v_sub_co_u32_e32 v5, vcc, v6, v10
	s_add_u32 s14, s14, 1
	s_nop 0
	v_subb_co_u32_e32 v1, vcc, v7, v1, vcc
	s_addc_u32 s15, s15, 0
	s_waitcnt lgkmcnt(0)
	v_mul_lo_u32 v1, s2, v1
	v_mul_lo_u32 v6, s3, v5
	v_mad_u64_u32 v[2:3], s[2:3], s2, v5, v[2:3]
	s_add_u32 s12, s12, 8
	v_add3_u32 v3, v6, v3, v1
	s_addc_u32 s13, s13, 0
	v_mov_b64_e32 v[6:7], s[6:7]
	s_add_u32 s16, s16, 8
	v_cmp_ge_u64_e32 vcc, s[14:15], v[6:7]
	s_addc_u32 s17, s17, 0
	s_cbranch_vccnz .LBB0_9
; %bb.7:                                ;   in Loop: Header=BB0_2 Depth=1
	v_mov_b64_e32 v[6:7], v[8:9]
	s_branch .LBB0_2
.LBB0_8:
	v_mov_b64_e32 v[8:9], v[6:7]
.LBB0_9:
	s_lshl_b64 s[2:3], s[6:7], 3
	s_add_u32 s2, s10, s2
	s_addc_u32 s3, s11, s3
	s_load_dwordx2 s[6:7], s[2:3], 0x0
	s_load_dwordx2 s[10:11], s[0:1], 0x20
	s_mov_b32 s2, 0x5050506
                                        ; implicit-def: $vgpr78_vgpr79
                                        ; implicit-def: $vgpr62_vgpr63
                                        ; implicit-def: $vgpr54_vgpr55
                                        ; implicit-def: $vgpr50_vgpr51
                                        ; implicit-def: $vgpr34_vgpr35
                                        ; implicit-def: $vgpr26_vgpr27
                                        ; implicit-def: $vgpr14_vgpr15
                                        ; implicit-def: $vgpr6_vgpr7
                                        ; implicit-def: $vgpr10_vgpr11
                                        ; implicit-def: $vgpr18_vgpr19
                                        ; implicit-def: $vgpr22_vgpr23
                                        ; implicit-def: $vgpr30_vgpr31
                                        ; implicit-def: $vgpr38_vgpr39
                                        ; implicit-def: $vgpr46_vgpr47
                                        ; implicit-def: $vgpr58_vgpr59
                                        ; implicit-def: $vgpr42_vgpr43
                                        ; implicit-def: $vgpr134_vgpr135
                                        ; implicit-def: $vgpr130_vgpr131
                                        ; implicit-def: $vgpr122_vgpr123
                                        ; implicit-def: $vgpr110_vgpr111
                                        ; implicit-def: $vgpr102_vgpr103
                                        ; implicit-def: $vgpr90_vgpr91
                                        ; implicit-def: $vgpr82_vgpr83
                                        ; implicit-def: $vgpr70_vgpr71
                                        ; implicit-def: $vgpr66_vgpr67
                                        ; implicit-def: $vgpr74_vgpr75
                                        ; implicit-def: $vgpr86_vgpr87
                                        ; implicit-def: $vgpr94_vgpr95
                                        ; implicit-def: $vgpr98_vgpr99
                                        ; implicit-def: $vgpr106_vgpr107
                                        ; implicit-def: $vgpr118_vgpr119
                                        ; implicit-def: $vgpr126_vgpr127
                                        ; implicit-def: $vgpr114_vgpr115
	s_waitcnt lgkmcnt(0)
	v_mul_lo_u32 v1, s6, v9
	v_mul_lo_u32 v4, s7, v8
	v_mad_u64_u32 v[2:3], s[0:1], s6, v8, v[2:3]
	v_add3_u32 v3, v4, v3, v1
	v_mul_hi_u32 v1, v0, s2
	v_mul_u32_u24_e32 v1, 51, v1
	v_cmp_gt_u64_e64 s[0:1], s[10:11], v[8:9]
	v_sub_u32_e32 v138, v0, v1
	v_lshl_add_u64 v[136:137], v[2:3], 4, s[8:9]
                                        ; implicit-def: $vgpr2_vgpr3
	s_and_saveexec_b64 s[2:3], s[0:1]
	s_cbranch_execz .LBB0_13
; %bb.10:
	v_mov_b32_e32 v139, 0
	v_lshl_add_u64 v[78:79], v[138:139], 4, v[136:137]
	s_movk_i32 s6, 0x1000
	v_add_co_u32_e32 v26, vcc, s6, v78
	s_movk_i32 s6, 0x2000
	s_nop 0
	v_addc_co_u32_e32 v27, vcc, 0, v79, vcc
	v_add_co_u32_e32 v50, vcc, s6, v78
	s_movk_i32 s6, 0x3000
	s_nop 0
	v_addc_co_u32_e32 v51, vcc, 0, v79, vcc
	;; [unrolled: 4-line block ×3, first 2 shown]
	v_add_co_u32_e32 v62, vcc, s6, v78
	global_load_dwordx4 v[112:115], v[78:79], off
	global_load_dwordx4 v[124:127], v[78:79], off offset:1296
	global_load_dwordx4 v[116:119], v[78:79], off offset:2592
	global_load_dwordx4 v[104:107], v[78:79], off offset:3888
	v_addc_co_u32_e32 v63, vcc, 0, v79, vcc
	v_add_co_u32_e32 v0, vcc, 0x5000, v78
	global_load_dwordx4 v[96:99], v[26:27], off offset:1088
	global_load_dwordx4 v[92:95], v[26:27], off offset:2384
	v_addc_co_u32_e32 v1, vcc, 0, v79, vcc
	global_load_dwordx4 v[84:87], v[26:27], off offset:3680
	global_load_dwordx4 v[72:75], v[50:51], off offset:880
	;; [unrolled: 1-line block ×11, first 2 shown]
	v_cmp_gt_u32_e32 vcc, 30, v138
                                        ; implicit-def: $vgpr40_vgpr41
                                        ; implicit-def: $vgpr56_vgpr57
                                        ; implicit-def: $vgpr44_vgpr45
                                        ; implicit-def: $vgpr36_vgpr37
                                        ; implicit-def: $vgpr28_vgpr29
                                        ; implicit-def: $vgpr20_vgpr21
                                        ; implicit-def: $vgpr16_vgpr17
                                        ; implicit-def: $vgpr8_vgpr9
                                        ; implicit-def: $vgpr0_vgpr1
                                        ; implicit-def: $vgpr4_vgpr5
                                        ; implicit-def: $vgpr12_vgpr13
                                        ; implicit-def: $vgpr24_vgpr25
                                        ; implicit-def: $vgpr32_vgpr33
                                        ; implicit-def: $vgpr48_vgpr49
                                        ; implicit-def: $vgpr52_vgpr53
                                        ; implicit-def: $vgpr60_vgpr61
                                        ; implicit-def: $vgpr76_vgpr77
	s_and_saveexec_b64 s[6:7], vcc
	s_cbranch_execz .LBB0_12
; %bb.11:
	global_load_dwordx4 v[40:43], v[78:79], off offset:816
	global_load_dwordx4 v[56:59], v[78:79], off offset:2112
	;; [unrolled: 1-line block ×11, first 2 shown]
                                        ; kill: killed $vgpr50 killed $vgpr51
                                        ; kill: killed $vgpr26 killed $vgpr27
	global_load_dwordx4 v[24:27], v[34:35], off offset:2784
	s_nop 0
	global_load_dwordx4 v[32:35], v[34:35], off offset:4080
	s_nop 0
	global_load_dwordx4 v[48:51], v[62:63], off offset:1280
	global_load_dwordx4 v[52:55], v[62:63], off offset:2576
	s_nop 0
	global_load_dwordx4 v[60:63], v[62:63], off offset:3872
	v_add_co_u32_e32 v76, vcc, 0x5000, v78
	s_nop 1
	v_addc_co_u32_e32 v77, vcc, 0, v79, vcc
	global_load_dwordx4 v[76:79], v[76:77], off offset:1072
.LBB0_12:
	s_or_b64 exec, exec, s[6:7]
.LBB0_13:
	s_or_b64 exec, exec, s[2:3]
	s_mov_b32 s16, 0x5d8e7cdc
	s_mov_b32 s28, 0x2a9d6da3
	;; [unrolled: 1-line block ×8, first 2 shown]
	s_waitcnt vmcnt(4)
	v_add_f64 v[144:145], v[126:127], -v[134:135]
	s_mov_b32 s17, 0xbfd71e95
	s_mov_b32 s10, 0x370991
	;; [unrolled: 1-line block ×16, first 2 shown]
	v_add_f64 v[142:143], v[132:133], v[124:125]
	v_mul_f64 v[146:147], v[144:145], s[16:17]
	s_mov_b32 s11, 0x3fedd6d0
	v_mul_f64 v[150:151], v[144:145], s[28:29]
	s_mov_b32 s9, 0x3fe7a5f6
	v_mul_f64 v[154:155], v[144:145], s[40:41]
	s_mov_b32 s7, 0x3fdc86fa
	v_mul_f64 v[158:159], v[144:145], s[26:27]
	s_mov_b32 s3, 0x3fb79ee6
	v_mul_f64 v[162:163], v[144:145], s[12:13]
	s_mov_b32 s15, 0xbfd183b1
	v_mul_f64 v[166:167], v[144:145], s[18:19]
	s_mov_b32 s21, 0xbfe348c8
	v_mul_f64 v[170:171], v[144:145], s[22:23]
	s_mov_b32 s25, 0xbfeb34fa
	v_mul_f64 v[144:145], v[144:145], s[30:31]
	s_mov_b32 s35, 0xbfef7484
	v_fma_f64 v[148:149], s[10:11], v[142:143], v[146:147]
	v_fma_f64 v[146:147], v[142:143], s[10:11], -v[146:147]
	v_fma_f64 v[152:153], s[8:9], v[142:143], v[150:151]
	v_fma_f64 v[150:151], v[142:143], s[8:9], -v[150:151]
	;; [unrolled: 2-line block ×8, first 2 shown]
	s_waitcnt vmcnt(0)
	v_add_f64 v[144:145], v[118:119], -v[130:131]
	v_add_f64 v[140:141], v[124:125], v[112:113]
	v_add_f64 v[148:149], v[112:113], v[148:149]
	;; [unrolled: 1-line block ×18, first 2 shown]
	v_mul_f64 v[176:177], v[144:145], s[28:29]
	v_fma_f64 v[178:179], s[8:9], v[142:143], v[176:177]
	v_fma_f64 v[176:177], v[142:143], s[8:9], -v[176:177]
	v_add_f64 v[146:147], v[176:177], v[146:147]
	v_mul_f64 v[176:177], v[144:145], s[26:27]
	v_add_f64 v[148:149], v[178:179], v[148:149]
	v_fma_f64 v[178:179], s[2:3], v[142:143], v[176:177]
	v_fma_f64 v[176:177], v[142:143], s[2:3], -v[176:177]
	v_add_f64 v[150:151], v[176:177], v[150:151]
	v_mul_f64 v[176:177], v[144:145], s[18:19]
	v_add_f64 v[152:153], v[178:179], v[152:153]
	;; [unrolled: 5-line block ×3, first 2 shown]
	v_fma_f64 v[178:179], s[34:35], v[142:143], v[176:177]
	v_fma_f64 v[176:177], v[142:143], s[34:35], -v[176:177]
	s_mov_b32 s49, 0x3fe0d888
	s_mov_b32 s48, s22
	v_add_f64 v[158:159], v[176:177], v[158:159]
	v_mul_f64 v[176:177], v[144:145], s[48:49]
	v_add_f64 v[160:161], v[178:179], v[160:161]
	v_fma_f64 v[178:179], s[24:25], v[142:143], v[176:177]
	v_fma_f64 v[176:177], v[142:143], s[24:25], -v[176:177]
	s_mov_b32 s47, 0x3feec746
	s_mov_b32 s46, s12
	v_add_f64 v[162:163], v[176:177], v[162:163]
	v_mul_f64 v[176:177], v[144:145], s[46:47]
	v_add_f64 v[164:165], v[178:179], v[164:165]
	v_fma_f64 v[178:179], s[14:15], v[142:143], v[176:177]
	v_fma_f64 v[176:177], v[142:143], s[14:15], -v[176:177]
	s_mov_b32 s37, 0x3feca52d
	s_mov_b32 s36, s40
	v_add_f64 v[166:167], v[176:177], v[166:167]
	v_mul_f64 v[176:177], v[144:145], s[36:37]
	s_mov_b32 s39, 0x3fd71e95
	s_mov_b32 s38, s16
	v_add_f64 v[168:169], v[178:179], v[168:169]
	v_fma_f64 v[178:179], s[6:7], v[142:143], v[176:177]
	v_fma_f64 v[176:177], v[142:143], s[6:7], -v[176:177]
	v_mul_f64 v[144:145], v[144:145], s[38:39]
	v_add_f64 v[170:171], v[176:177], v[170:171]
	v_fma_f64 v[176:177], s[10:11], v[142:143], v[144:145]
	v_fma_f64 v[142:143], v[142:143], s[10:11], -v[144:145]
	v_add_f64 v[144:145], v[106:107], -v[122:123]
	v_add_f64 v[174:175], v[176:177], v[174:175]
	v_add_f64 v[112:113], v[142:143], v[112:113]
	;; [unrolled: 1-line block ×3, first 2 shown]
	v_mul_f64 v[176:177], v[144:145], s[40:41]
	v_add_f64 v[172:173], v[178:179], v[172:173]
	v_fma_f64 v[178:179], s[6:7], v[142:143], v[176:177]
	v_fma_f64 v[176:177], v[142:143], s[6:7], -v[176:177]
	v_add_f64 v[146:147], v[176:177], v[146:147]
	v_mul_f64 v[176:177], v[144:145], s[18:19]
	v_add_f64 v[148:149], v[178:179], v[148:149]
	v_fma_f64 v[178:179], s[20:21], v[142:143], v[176:177]
	v_fma_f64 v[176:177], v[142:143], s[20:21], -v[176:177]
	s_mov_b32 s53, 0x3fc7851a
	s_mov_b32 s52, s30
	v_add_f64 v[150:151], v[176:177], v[150:151]
	v_mul_f64 v[176:177], v[144:145], s[52:53]
	v_add_f64 v[152:153], v[178:179], v[152:153]
	v_fma_f64 v[178:179], s[34:35], v[142:143], v[176:177]
	v_fma_f64 v[176:177], v[142:143], s[34:35], -v[176:177]
	v_add_f64 v[154:155], v[176:177], v[154:155]
	v_mul_f64 v[176:177], v[144:145], s[46:47]
	v_add_f64 v[156:157], v[178:179], v[156:157]
	v_fma_f64 v[178:179], s[14:15], v[142:143], v[176:177]
	v_fma_f64 v[176:177], v[142:143], s[14:15], -v[176:177]
	s_mov_b32 s43, 0x3fe58eea
	s_mov_b32 s42, s28
	v_add_f64 v[158:159], v[176:177], v[158:159]
	v_mul_f64 v[176:177], v[144:145], s[42:43]
	v_add_f64 v[160:161], v[178:179], v[160:161]
	v_fma_f64 v[178:179], s[8:9], v[142:143], v[176:177]
	v_fma_f64 v[176:177], v[142:143], s[8:9], -v[176:177]
	v_add_f64 v[162:163], v[176:177], v[162:163]
	v_mul_f64 v[176:177], v[144:145], s[16:17]
	v_add_f64 v[164:165], v[178:179], v[164:165]
	v_fma_f64 v[178:179], s[10:11], v[142:143], v[176:177]
	v_fma_f64 v[176:177], v[142:143], s[10:11], -v[176:177]
	;; [unrolled: 5-line block ×3, first 2 shown]
	v_mul_f64 v[144:145], v[144:145], s[22:23]
	v_add_f64 v[170:171], v[176:177], v[170:171]
	v_fma_f64 v[176:177], s[24:25], v[142:143], v[144:145]
	v_fma_f64 v[142:143], v[142:143], s[24:25], -v[144:145]
	v_add_f64 v[144:145], v[98:99], -v[110:111]
	v_add_f64 v[174:175], v[176:177], v[174:175]
	v_add_f64 v[112:113], v[142:143], v[112:113]
	;; [unrolled: 1-line block ×3, first 2 shown]
	v_mul_f64 v[176:177], v[144:145], s[26:27]
	v_add_f64 v[172:173], v[178:179], v[172:173]
	v_fma_f64 v[178:179], s[2:3], v[142:143], v[176:177]
	v_fma_f64 v[176:177], v[142:143], s[2:3], -v[176:177]
	v_add_f64 v[146:147], v[176:177], v[146:147]
	v_mul_f64 v[176:177], v[144:145], s[30:31]
	v_add_f64 v[148:149], v[178:179], v[148:149]
	v_fma_f64 v[178:179], s[34:35], v[142:143], v[176:177]
	v_fma_f64 v[176:177], v[142:143], s[34:35], -v[176:177]
	v_add_f64 v[150:151], v[176:177], v[150:151]
	;; [unrolled: 5-line block ×5, first 2 shown]
	v_mul_f64 v[176:177], v[144:145], s[22:23]
	v_add_f64 v[164:165], v[178:179], v[164:165]
	v_fma_f64 v[178:179], s[24:25], v[142:143], v[176:177]
	v_fma_f64 v[176:177], v[142:143], s[24:25], -v[176:177]
	s_mov_b32 s51, 0x3fe9895b
	s_mov_b32 s50, s18
	v_add_f64 v[166:167], v[176:177], v[166:167]
	v_mul_f64 v[176:177], v[144:145], s[50:51]
	v_add_f64 v[168:169], v[178:179], v[168:169]
	v_fma_f64 v[178:179], s[20:21], v[142:143], v[176:177]
	v_fma_f64 v[176:177], v[142:143], s[20:21], -v[176:177]
	v_mul_f64 v[144:145], v[144:145], s[42:43]
	v_add_f64 v[170:171], v[176:177], v[170:171]
	v_fma_f64 v[176:177], s[8:9], v[142:143], v[144:145]
	v_fma_f64 v[142:143], v[142:143], s[8:9], -v[144:145]
	v_add_f64 v[144:145], v[94:95], -v[102:103]
	v_add_f64 v[174:175], v[176:177], v[174:175]
	v_add_f64 v[112:113], v[142:143], v[112:113]
	;; [unrolled: 1-line block ×3, first 2 shown]
	v_mul_f64 v[176:177], v[144:145], s[12:13]
	v_add_f64 v[172:173], v[178:179], v[172:173]
	v_fma_f64 v[178:179], s[14:15], v[142:143], v[176:177]
	v_fma_f64 v[176:177], v[142:143], s[14:15], -v[176:177]
	v_add_f64 v[146:147], v[176:177], v[146:147]
	v_mul_f64 v[176:177], v[144:145], s[48:49]
	v_add_f64 v[148:149], v[178:179], v[148:149]
	v_fma_f64 v[178:179], s[24:25], v[142:143], v[176:177]
	v_fma_f64 v[176:177], v[142:143], s[24:25], -v[176:177]
	v_add_f64 v[150:151], v[176:177], v[150:151]
	;; [unrolled: 5-line block ×4, first 2 shown]
	v_mul_f64 v[176:177], v[144:145], s[30:31]
	v_add_f64 v[160:161], v[178:179], v[160:161]
	v_fma_f64 v[178:179], s[34:35], v[142:143], v[176:177]
	v_fma_f64 v[176:177], v[142:143], s[34:35], -v[176:177]
	s_mov_b32 s45, 0x3fefdd0d
	s_mov_b32 s44, s26
	v_add_f64 v[162:163], v[176:177], v[162:163]
	v_mul_f64 v[176:177], v[144:145], s[44:45]
	v_add_f64 v[164:165], v[178:179], v[164:165]
	v_fma_f64 v[178:179], s[2:3], v[142:143], v[176:177]
	v_fma_f64 v[176:177], v[142:143], s[2:3], -v[176:177]
	v_add_f64 v[166:167], v[176:177], v[166:167]
	v_mul_f64 v[176:177], v[144:145], s[16:17]
	v_add_f64 v[168:169], v[178:179], v[168:169]
	v_fma_f64 v[178:179], s[10:11], v[142:143], v[176:177]
	v_fma_f64 v[176:177], v[142:143], s[10:11], -v[176:177]
	v_mul_f64 v[144:145], v[144:145], s[18:19]
	v_add_f64 v[170:171], v[176:177], v[170:171]
	v_fma_f64 v[176:177], s[20:21], v[142:143], v[144:145]
	v_fma_f64 v[142:143], v[142:143], s[20:21], -v[144:145]
	v_add_f64 v[144:145], v[86:87], -v[90:91]
	v_add_f64 v[174:175], v[176:177], v[174:175]
	v_add_f64 v[112:113], v[142:143], v[112:113]
	;; [unrolled: 1-line block ×3, first 2 shown]
	v_mul_f64 v[176:177], v[144:145], s[18:19]
	v_add_f64 v[172:173], v[178:179], v[172:173]
	v_fma_f64 v[178:179], s[20:21], v[142:143], v[176:177]
	v_fma_f64 v[176:177], v[142:143], s[20:21], -v[176:177]
	v_add_f64 v[146:147], v[176:177], v[146:147]
	v_mul_f64 v[176:177], v[144:145], s[46:47]
	v_add_f64 v[148:149], v[178:179], v[148:149]
	v_fma_f64 v[178:179], s[14:15], v[142:143], v[176:177]
	v_fma_f64 v[176:177], v[142:143], s[14:15], -v[176:177]
	v_add_f64 v[150:151], v[176:177], v[150:151]
	;; [unrolled: 5-line block ×6, first 2 shown]
	v_mul_f64 v[176:177], v[144:145], s[30:31]
	v_add_f64 v[168:169], v[178:179], v[168:169]
	v_fma_f64 v[178:179], s[34:35], v[142:143], v[176:177]
	v_fma_f64 v[176:177], v[142:143], s[34:35], -v[176:177]
	v_mul_f64 v[144:145], v[144:145], s[36:37]
	v_add_f64 v[170:171], v[176:177], v[170:171]
	v_fma_f64 v[176:177], s[6:7], v[142:143], v[144:145]
	v_fma_f64 v[142:143], v[142:143], s[6:7], -v[144:145]
	v_add_f64 v[144:145], v[74:75], -v[82:83]
	v_add_f64 v[174:175], v[176:177], v[174:175]
	v_add_f64 v[112:113], v[142:143], v[112:113]
	v_add_f64 v[142:143], v[80:81], v[72:73]
	v_mul_f64 v[176:177], v[144:145], s[22:23]
	v_add_f64 v[172:173], v[178:179], v[172:173]
	v_fma_f64 v[178:179], s[24:25], v[142:143], v[176:177]
	v_fma_f64 v[176:177], v[142:143], s[24:25], -v[176:177]
	v_add_f64 v[146:147], v[176:177], v[146:147]
	v_mul_f64 v[176:177], v[144:145], s[36:37]
	v_add_f64 v[148:149], v[178:179], v[148:149]
	v_fma_f64 v[178:179], s[6:7], v[142:143], v[176:177]
	v_fma_f64 v[176:177], v[142:143], s[6:7], -v[176:177]
	v_add_f64 v[150:151], v[176:177], v[150:151]
	;; [unrolled: 5-line block ×6, first 2 shown]
	v_mul_f64 v[176:177], v[144:145], s[42:43]
	v_add_f64 v[168:169], v[178:179], v[168:169]
	v_fma_f64 v[178:179], s[8:9], v[142:143], v[176:177]
	v_fma_f64 v[176:177], v[142:143], s[8:9], -v[176:177]
	v_mul_f64 v[144:145], v[144:145], s[12:13]
	v_add_f64 v[170:171], v[176:177], v[170:171]
	v_fma_f64 v[176:177], s[14:15], v[142:143], v[144:145]
	v_fma_f64 v[142:143], v[142:143], s[14:15], -v[144:145]
	v_add_f64 v[144:145], v[66:67], -v[70:71]
	v_add_f64 v[140:141], v[116:117], v[140:141]
	v_add_f64 v[174:175], v[176:177], v[174:175]
	v_add_f64 v[112:113], v[142:143], v[112:113]
	v_add_f64 v[142:143], v[68:69], v[64:65]
	v_mul_f64 v[176:177], v[144:145], s[30:31]
	v_add_f64 v[140:141], v[104:105], v[140:141]
	v_add_f64 v[172:173], v[178:179], v[172:173]
	v_fma_f64 v[178:179], s[34:35], v[142:143], v[176:177]
	v_fma_f64 v[176:177], v[142:143], s[34:35], -v[176:177]
	v_add_f64 v[140:141], v[96:97], v[140:141]
	v_add_f64 v[146:147], v[176:177], v[146:147]
	v_mul_f64 v[176:177], v[144:145], s[38:39]
	v_add_f64 v[140:141], v[92:93], v[140:141]
	v_add_f64 v[148:149], v[178:179], v[148:149]
	v_fma_f64 v[178:179], s[10:11], v[142:143], v[176:177]
	v_fma_f64 v[176:177], v[142:143], s[10:11], -v[176:177]
	v_add_f64 v[140:141], v[84:85], v[140:141]
	v_add_f64 v[150:151], v[176:177], v[150:151]
	;; [unrolled: 7-line block ×6, first 2 shown]
	v_mul_f64 v[176:177], v[144:145], s[12:13]
	v_add_f64 v[140:141], v[128:129], v[140:141]
	v_add_f64 v[168:169], v[178:179], v[168:169]
	v_fma_f64 v[178:179], s[14:15], v[142:143], v[176:177]
	v_fma_f64 v[176:177], v[142:143], s[14:15], -v[176:177]
	v_mul_f64 v[144:145], v[144:145], s[44:45]
	s_movk_i32 s33, 0x88
	v_add_f64 v[140:141], v[132:133], v[140:141]
	v_add_f64 v[170:171], v[176:177], v[170:171]
	v_fma_f64 v[176:177], s[2:3], v[142:143], v[144:145]
	v_fma_f64 v[142:143], v[142:143], s[2:3], -v[144:145]
	v_mad_u32_u24 v184, v138, s33, 0
	v_cmp_gt_u32_e32 vcc, 30, v138
	v_add_f64 v[172:173], v[178:179], v[172:173]
	v_add_f64 v[174:175], v[176:177], v[174:175]
	;; [unrolled: 1-line block ×3, first 2 shown]
	ds_write2_b64 v184, v[140:141], v[148:149] offset1:1
	ds_write2_b64 v184, v[152:153], v[156:157] offset0:2 offset1:3
	ds_write2_b64 v184, v[160:161], v[164:165] offset0:4 offset1:5
	;; [unrolled: 1-line block ×7, first 2 shown]
	ds_write_b64 v184, v[146:147] offset:128
	s_and_saveexec_b64 s[54:55], vcc
	s_cbranch_execz .LBB0_15
; %bb.14:
	v_add_f64 v[174:175], v[76:77], v[56:57]
	v_add_f64 v[172:173], v[60:61], v[44:45]
	v_mul_f64 v[200:201], v[174:175], s[34:35]
	v_add_f64 v[158:159], v[58:59], -v[78:79]
	v_add_f64 v[170:171], v[52:53], v[36:37]
	v_mul_f64 v[196:197], v[172:173], s[10:11]
	v_add_f64 v[156:157], v[46:47], -v[62:63]
	v_fma_f64 v[202:203], s[52:53], v[158:159], v[200:201]
	v_add_f64 v[168:169], v[48:49], v[28:29]
	v_mul_f64 v[192:193], v[170:171], s[24:25]
	v_add_f64 v[152:153], v[38:39], -v[54:55]
	v_fma_f64 v[198:199], s[16:17], v[156:157], v[196:197]
	v_add_f64 v[202:203], v[40:41], v[202:203]
	v_add_f64 v[166:167], v[32:33], v[20:21]
	v_mul_f64 v[188:189], v[168:169], s[8:9]
	v_add_f64 v[150:151], v[30:31], -v[50:51]
	v_fma_f64 v[194:195], s[48:49], v[152:153], v[192:193]
	v_add_f64 v[198:199], v[198:199], v[202:203]
	;; [unrolled: 5-line block ×5, first 2 shown]
	v_mul_f64 v[140:141], v[160:161], s[2:3]
	v_add_f64 v[142:143], v[2:3], -v[6:7]
	v_fma_f64 v[176:177], s[46:47], v[144:145], v[154:155]
	v_add_f64 v[180:181], v[180:181], v[186:187]
	v_fma_f64 v[112:113], s[26:27], v[142:143], v[140:141]
	v_add_f64 v[176:177], v[176:177], v[180:181]
	v_fmac_f64_e32 v[200:201], s[30:31], v[158:159]
	v_mul_f64 v[204:205], v[174:175], s[24:25]
	v_add_f64 v[112:113], v[112:113], v[176:177]
	v_fmac_f64_e32 v[196:197], s[38:39], v[156:157]
	v_add_f64 v[176:177], v[40:41], v[200:201]
	v_mul_f64 v[200:201], v[172:173], s[6:7]
	v_fma_f64 v[206:207], s[48:49], v[158:159], v[204:205]
	v_fmac_f64_e32 v[192:193], s[22:23], v[152:153]
	v_add_f64 v[176:177], v[196:197], v[176:177]
	v_mul_f64 v[196:197], v[170:171], s[2:3]
	v_fma_f64 v[202:203], s[40:41], v[156:157], v[200:201]
	v_add_f64 v[206:207], v[40:41], v[206:207]
	v_fmac_f64_e32 v[188:189], s[42:43], v[150:151]
	v_add_f64 v[176:177], v[192:193], v[176:177]
	v_mul_f64 v[192:193], v[168:169], s[20:21]
	v_fma_f64 v[198:199], s[44:45], v[152:153], v[196:197]
	v_add_f64 v[202:203], v[202:203], v[206:207]
	v_fmac_f64_e32 v[182:183], s[18:19], v[148:149]
	v_add_f64 v[176:177], v[188:189], v[176:177]
	v_mul_f64 v[188:189], v[166:167], s[10:11]
	v_fma_f64 v[194:195], s[18:19], v[150:151], v[192:193]
	v_add_f64 v[198:199], v[198:199], v[202:203]
	v_fmac_f64_e32 v[178:179], s[36:37], v[146:147]
	v_add_f64 v[176:177], v[182:183], v[176:177]
	v_mul_f64 v[182:183], v[164:165], s[34:35]
	v_fma_f64 v[190:191], s[38:39], v[148:149], v[188:189]
	v_add_f64 v[194:195], v[194:195], v[198:199]
	v_fmac_f64_e32 v[154:155], s[12:13], v[144:145]
	v_add_f64 v[176:177], v[178:179], v[176:177]
	v_mul_f64 v[178:179], v[162:163], s[8:9]
	v_fma_f64 v[186:187], s[52:53], v[146:147], v[182:183]
	v_add_f64 v[190:191], v[190:191], v[194:195]
	v_fmac_f64_e32 v[140:141], s[44:45], v[142:143]
	v_add_f64 v[154:155], v[154:155], v[176:177]
	v_mul_f64 v[176:177], v[160:161], s[14:15]
	v_fma_f64 v[180:181], s[28:29], v[144:145], v[178:179]
	v_add_f64 v[186:187], v[186:187], v[190:191]
	v_add_f64 v[140:141], v[140:141], v[154:155]
	v_fma_f64 v[154:155], s[46:47], v[142:143], v[176:177]
	v_add_f64 v[180:181], v[180:181], v[186:187]
	v_fmac_f64_e32 v[204:205], s[22:23], v[158:159]
	v_mul_f64 v[208:209], v[174:175], s[20:21]
	v_add_f64 v[154:155], v[154:155], v[180:181]
	v_fmac_f64_e32 v[200:201], s[36:37], v[156:157]
	v_add_f64 v[180:181], v[40:41], v[204:205]
	v_mul_f64 v[204:205], v[172:173], s[14:15]
	v_fma_f64 v[210:211], s[50:51], v[158:159], v[208:209]
	v_fmac_f64_e32 v[196:197], s[26:27], v[152:153]
	v_add_f64 v[180:181], v[200:201], v[180:181]
	v_mul_f64 v[200:201], v[170:171], s[10:11]
	v_fma_f64 v[206:207], s[12:13], v[156:157], v[204:205]
	v_add_f64 v[210:211], v[40:41], v[210:211]
	v_fmac_f64_e32 v[192:193], s[50:51], v[150:151]
	v_add_f64 v[180:181], v[196:197], v[180:181]
	v_mul_f64 v[196:197], v[168:169], s[24:25]
	v_fma_f64 v[202:203], s[38:39], v[152:153], v[200:201]
	v_add_f64 v[206:207], v[206:207], v[210:211]
	v_fmac_f64_e32 v[188:189], s[16:17], v[148:149]
	v_add_f64 v[180:181], v[192:193], v[180:181]
	v_mul_f64 v[192:193], v[166:167], s[2:3]
	v_fma_f64 v[198:199], s[48:49], v[150:151], v[196:197]
	v_add_f64 v[202:203], v[202:203], v[206:207]
	v_fmac_f64_e32 v[182:183], s[30:31], v[146:147]
	v_add_f64 v[180:181], v[188:189], v[180:181]
	v_mul_f64 v[188:189], v[164:165], s[8:9]
	v_fma_f64 v[194:195], s[26:27], v[148:149], v[192:193]
	v_add_f64 v[198:199], v[198:199], v[202:203]
	v_fmac_f64_e32 v[178:179], s[42:43], v[144:145]
	v_add_f64 v[180:181], v[182:183], v[180:181]
	v_mul_f64 v[182:183], v[162:163], s[34:35]
	v_fma_f64 v[190:191], s[42:43], v[146:147], v[188:189]
	v_add_f64 v[194:195], v[194:195], v[198:199]
	v_fmac_f64_e32 v[176:177], s[12:13], v[142:143]
	v_add_f64 v[178:179], v[178:179], v[180:181]
	v_mul_f64 v[180:181], v[160:161], s[6:7]
	v_fma_f64 v[186:187], s[52:53], v[144:145], v[182:183]
	v_add_f64 v[190:191], v[190:191], v[194:195]
	;; [unrolled: 40-line block ×3, first 2 shown]
	v_add_f64 v[180:181], v[180:181], v[182:183]
	v_fma_f64 v[182:183], s[50:51], v[142:143], v[186:187]
	v_add_f64 v[190:191], v[190:191], v[194:195]
	v_fmac_f64_e32 v[212:213], s[12:13], v[158:159]
	v_add_f64 v[182:183], v[182:183], v[190:191]
	v_fmac_f64_e32 v[208:209], s[48:49], v[156:157]
	v_add_f64 v[190:191], v[40:41], v[212:213]
	v_mul_f64 v[216:217], v[174:175], s[2:3]
	v_fmac_f64_e32 v[204:205], s[42:43], v[152:153]
	v_add_f64 v[190:191], v[208:209], v[190:191]
	v_mul_f64 v[212:213], v[172:173], s[34:35]
	v_fma_f64 v[218:219], s[44:45], v[158:159], v[216:217]
	v_fmac_f64_e32 v[200:201], s[40:41], v[150:151]
	v_add_f64 v[190:191], v[204:205], v[190:191]
	v_mul_f64 v[208:209], v[170:171], s[14:15]
	v_fma_f64 v[214:215], s[52:53], v[156:157], v[212:213]
	v_add_f64 v[218:219], v[40:41], v[218:219]
	v_fmac_f64_e32 v[196:197], s[30:31], v[148:149]
	v_add_f64 v[190:191], v[200:201], v[190:191]
	v_mul_f64 v[204:205], v[168:169], s[10:11]
	v_fma_f64 v[210:211], s[12:13], v[152:153], v[208:209]
	v_add_f64 v[214:215], v[214:215], v[218:219]
	v_fmac_f64_e32 v[192:193], s[44:45], v[146:147]
	v_add_f64 v[190:191], v[196:197], v[190:191]
	v_mul_f64 v[200:201], v[166:167], s[6:7]
	v_fma_f64 v[206:207], s[16:17], v[150:151], v[204:205]
	v_add_f64 v[210:211], v[210:211], v[214:215]
	v_fmac_f64_e32 v[188:189], s[16:17], v[144:145]
	v_add_f64 v[190:191], v[192:193], v[190:191]
	v_mul_f64 v[196:197], v[164:165], s[24:25]
	v_fma_f64 v[202:203], s[36:37], v[148:149], v[200:201]
	v_add_f64 v[206:207], v[206:207], v[210:211]
	v_fmac_f64_e32 v[186:187], s[18:19], v[142:143]
	v_add_f64 v[188:189], v[188:189], v[190:191]
	v_mul_f64 v[192:193], v[162:163], s[20:21]
	v_fma_f64 v[198:199], s[48:49], v[146:147], v[196:197]
	v_add_f64 v[202:203], v[202:203], v[206:207]
	v_add_f64 v[186:187], v[186:187], v[188:189]
	v_mul_f64 v[188:189], v[160:161], s[8:9]
	v_fma_f64 v[194:195], s[18:19], v[144:145], v[192:193]
	v_add_f64 v[198:199], v[198:199], v[202:203]
	v_fma_f64 v[190:191], s[28:29], v[142:143], v[188:189]
	v_add_f64 v[194:195], v[194:195], v[198:199]
	v_fmac_f64_e32 v[216:217], s[26:27], v[158:159]
	v_add_f64 v[190:191], v[190:191], v[194:195]
	v_fmac_f64_e32 v[212:213], s[30:31], v[156:157]
	v_add_f64 v[194:195], v[40:41], v[216:217]
	v_mul_f64 v[220:221], v[174:175], s[6:7]
	v_fmac_f64_e32 v[208:209], s[46:47], v[152:153]
	v_add_f64 v[194:195], v[212:213], v[194:195]
	v_mul_f64 v[216:217], v[172:173], s[20:21]
	v_fma_f64 v[222:223], s[36:37], v[158:159], v[220:221]
	v_fmac_f64_e32 v[204:205], s[38:39], v[150:151]
	v_add_f64 v[194:195], v[208:209], v[194:195]
	v_mul_f64 v[212:213], v[170:171], s[34:35]
	v_fma_f64 v[218:219], s[50:51], v[156:157], v[216:217]
	v_add_f64 v[222:223], v[40:41], v[222:223]
	v_fmac_f64_e32 v[200:201], s[40:41], v[148:149]
	v_add_f64 v[194:195], v[204:205], v[194:195]
	v_mul_f64 v[208:209], v[168:169], s[14:15]
	v_fma_f64 v[214:215], s[30:31], v[152:153], v[212:213]
	v_add_f64 v[218:219], v[218:219], v[222:223]
	v_fmac_f64_e32 v[196:197], s[22:23], v[146:147]
	v_add_f64 v[194:195], v[200:201], v[194:195]
	v_mul_f64 v[204:205], v[166:167], s[8:9]
	v_fma_f64 v[210:211], s[12:13], v[150:151], v[208:209]
	v_add_f64 v[214:215], v[214:215], v[218:219]
	v_fmac_f64_e32 v[192:193], s[50:51], v[144:145]
	v_add_f64 v[194:195], v[196:197], v[194:195]
	v_mul_f64 v[200:201], v[164:165], s[10:11]
	v_fma_f64 v[206:207], s[28:29], v[148:149], v[204:205]
	v_add_f64 v[210:211], v[210:211], v[214:215]
	v_fmac_f64_e32 v[188:189], s[42:43], v[142:143]
	v_add_f64 v[192:193], v[192:193], v[194:195]
	v_mul_f64 v[196:197], v[162:163], s[2:3]
	v_fma_f64 v[202:203], s[38:39], v[146:147], v[200:201]
	v_add_f64 v[206:207], v[206:207], v[210:211]
	v_add_f64 v[188:189], v[188:189], v[192:193]
	v_mul_f64 v[192:193], v[160:161], s[24:25]
	v_fma_f64 v[198:199], s[44:45], v[144:145], v[196:197]
	;; [unrolled: 40-line block ×3, first 2 shown]
	v_add_f64 v[206:207], v[206:207], v[210:211]
	v_fma_f64 v[198:199], s[16:17], v[142:143], v[196:197]
	v_add_f64 v[202:203], v[202:203], v[206:207]
	v_fmac_f64_e32 v[224:225], s[28:29], v[158:159]
	v_add_f64 v[198:199], v[198:199], v[202:203]
	v_fmac_f64_e32 v[220:221], s[26:27], v[156:157]
	;; [unrolled: 2-line block ×7, first 2 shown]
	v_add_f64 v[202:203], v[204:205], v[202:203]
	v_mul_f64 v[174:175], v[174:175], s[10:11]
	v_fmac_f64_e32 v[196:197], s[38:39], v[142:143]
	v_add_f64 v[200:201], v[200:201], v[202:203]
	v_mul_f64 v[160:161], v[160:161], s[34:35]
	v_fma_f64 v[214:215], s[38:39], v[158:159], v[174:175]
	v_fmac_f64_e32 v[174:175], s[16:17], v[158:159]
	v_add_f64 v[196:197], v[196:197], v[200:201]
	v_fma_f64 v[200:201], s[52:53], v[142:143], v[160:161]
	v_add_f64 v[214:215], v[40:41], v[214:215]
	v_fmac_f64_e32 v[160:161], s[30:31], v[142:143]
	v_add_f64 v[142:143], v[40:41], v[174:175]
	v_add_f64 v[40:41], v[56:57], v[40:41]
	;; [unrolled: 1-line block ×8, first 2 shown]
	v_mul_f64 v[172:173], v[172:173], s[8:9]
	v_add_f64 v[40:41], v[0:1], v[40:41]
	v_mul_f64 v[170:171], v[170:171], s[6:7]
	v_fma_f64 v[212:213], s[42:43], v[156:157], v[172:173]
	v_fmac_f64_e32 v[172:173], s[28:29], v[156:157]
	v_add_f64 v[40:41], v[4:5], v[40:41]
	v_mul_f64 v[168:169], v[168:169], s[2:3]
	v_fma_f64 v[210:211], s[36:37], v[152:153], v[170:171]
	v_fmac_f64_e32 v[170:171], s[40:41], v[152:153]
	v_add_f64 v[142:143], v[172:173], v[142:143]
	v_add_f64 v[40:41], v[12:13], v[40:41]
	v_mul_f64 v[166:167], v[166:167], s[14:15]
	v_fma_f64 v[208:209], s[44:45], v[150:151], v[168:169]
	v_fmac_f64_e32 v[168:169], s[26:27], v[150:151]
	v_add_f64 v[142:143], v[170:171], v[142:143]
	;; [unrolled: 5-line block ×4, first 2 shown]
	v_add_f64 v[40:41], v[48:49], v[40:41]
	v_fma_f64 v[202:203], s[48:49], v[144:145], v[162:163]
	v_fmac_f64_e32 v[162:163], s[22:23], v[144:145]
	v_add_f64 v[142:143], v[164:165], v[142:143]
	v_add_f64 v[40:41], v[52:53], v[40:41]
	;; [unrolled: 1-line block ×6, first 2 shown]
	v_add_u32_e32 v139, 0x1b18, v184
	ds_write2_b64 v139, v[40:41], v[142:143] offset1:1
	v_add_u32_e32 v40, 0x1b28, v184
	v_add_f64 v[212:213], v[212:213], v[214:215]
	ds_write2_b64 v40, v[196:197], v[192:193] offset1:1
	v_add_u32_e32 v40, 0x1b38, v184
	v_add_f64 v[210:211], v[210:211], v[212:213]
	;; [unrolled: 3-line block ×7, first 2 shown]
	ds_write2_b64 v40, v[194:195], v[198:199] offset1:1
	ds_write_b64 v184, v[200:201] offset:7064
.LBB0_15:
	s_or_b64 exec, exec, s[54:55]
	v_add_f64 v[40:41], v[126:127], v[114:115]
	v_add_f64 v[40:41], v[118:119], v[40:41]
	;; [unrolled: 1-line block ×15, first 2 shown]
	v_add_f64 v[112:113], v[124:125], -v[132:133]
	v_add_f64 v[140:141], v[134:135], v[40:41]
	v_add_f64 v[40:41], v[134:135], v[126:127]
	v_mul_f64 v[124:125], v[112:113], s[16:17]
	v_mul_f64 v[132:133], v[112:113], s[28:29]
	;; [unrolled: 1-line block ×8, first 2 shown]
	v_fma_f64 v[126:127], v[40:41], s[10:11], -v[124:125]
	v_fmac_f64_e32 v[124:125], s[10:11], v[40:41]
	v_fma_f64 v[134:135], v[40:41], s[8:9], -v[132:133]
	v_fmac_f64_e32 v[132:133], s[8:9], v[40:41]
	;; [unrolled: 2-line block ×8, first 2 shown]
	v_add_f64 v[126:127], v[114:115], v[126:127]
	v_add_f64 v[124:125], v[114:115], v[124:125]
	;; [unrolled: 1-line block ×16, first 2 shown]
	v_add_f64 v[114:115], v[116:117], -v[128:129]
	v_add_f64 v[112:113], v[130:131], v[118:119]
	v_mul_f64 v[116:117], v[114:115], s[28:29]
	v_fma_f64 v[118:119], v[112:113], s[8:9], -v[116:117]
	v_fmac_f64_e32 v[116:117], s[8:9], v[112:113]
	v_add_f64 v[116:117], v[116:117], v[124:125]
	v_mul_f64 v[124:125], v[114:115], s[26:27]
	v_add_f64 v[118:119], v[118:119], v[126:127]
	v_fma_f64 v[126:127], v[112:113], s[2:3], -v[124:125]
	v_fmac_f64_e32 v[124:125], s[2:3], v[112:113]
	v_mul_f64 v[128:129], v[114:115], s[18:19]
	v_add_f64 v[124:125], v[124:125], v[132:133]
	v_fma_f64 v[130:131], v[112:113], s[20:21], -v[128:129]
	v_fmac_f64_e32 v[128:129], s[20:21], v[112:113]
	v_mul_f64 v[132:133], v[114:115], s[30:31]
	v_add_f64 v[126:127], v[126:127], v[134:135]
	v_add_f64 v[128:129], v[128:129], v[142:143]
	v_fma_f64 v[134:135], v[112:113], s[34:35], -v[132:133]
	v_fmac_f64_e32 v[132:133], s[34:35], v[112:113]
	v_mul_f64 v[142:143], v[114:115], s[48:49]
	v_add_f64 v[130:131], v[130:131], v[144:145]
	;; [unrolled: 5-line block ×3, first 2 shown]
	v_add_f64 v[142:143], v[142:143], v[150:151]
	v_fma_f64 v[148:149], v[112:113], s[14:15], -v[146:147]
	v_fmac_f64_e32 v[146:147], s[14:15], v[112:113]
	v_mul_f64 v[150:151], v[114:115], s[36:37]
	v_mul_f64 v[114:115], v[114:115], s[38:39]
	v_add_f64 v[104:105], v[104:105], -v[120:121]
	v_add_f64 v[144:145], v[144:145], v[152:153]
	v_add_f64 v[146:147], v[146:147], v[154:155]
	v_fma_f64 v[152:153], v[112:113], s[6:7], -v[150:151]
	v_fmac_f64_e32 v[150:151], s[6:7], v[112:113]
	v_fma_f64 v[154:155], v[112:113], s[10:11], -v[114:115]
	v_fmac_f64_e32 v[114:115], s[10:11], v[112:113]
	v_add_f64 v[106:107], v[122:123], v[106:107]
	v_mul_f64 v[112:113], v[104:105], s[40:41]
	v_add_f64 v[40:41], v[114:115], v[40:41]
	v_fma_f64 v[114:115], v[106:107], s[6:7], -v[112:113]
	v_fmac_f64_e32 v[112:113], s[6:7], v[106:107]
	v_add_f64 v[112:113], v[112:113], v[116:117]
	v_mul_f64 v[116:117], v[104:105], s[18:19]
	v_add_f64 v[114:115], v[114:115], v[118:119]
	v_fma_f64 v[118:119], v[106:107], s[20:21], -v[116:117]
	v_fmac_f64_e32 v[116:117], s[20:21], v[106:107]
	v_mul_f64 v[120:121], v[104:105], s[52:53]
	v_add_f64 v[116:117], v[116:117], v[124:125]
	v_fma_f64 v[122:123], v[106:107], s[34:35], -v[120:121]
	v_fmac_f64_e32 v[120:121], s[34:35], v[106:107]
	v_mul_f64 v[124:125], v[104:105], s[46:47]
	v_add_f64 v[118:119], v[118:119], v[126:127]
	v_add_f64 v[120:121], v[120:121], v[128:129]
	v_fma_f64 v[126:127], v[106:107], s[14:15], -v[124:125]
	v_fmac_f64_e32 v[124:125], s[14:15], v[106:107]
	v_mul_f64 v[128:129], v[104:105], s[42:43]
	v_add_f64 v[122:123], v[122:123], v[130:131]
	;; [unrolled: 5-line block ×3, first 2 shown]
	v_add_f64 v[128:129], v[128:129], v[142:143]
	v_fma_f64 v[134:135], v[106:107], s[10:11], -v[132:133]
	v_fmac_f64_e32 v[132:133], s[10:11], v[106:107]
	v_mul_f64 v[142:143], v[104:105], s[26:27]
	v_mul_f64 v[104:105], v[104:105], s[22:23]
	v_add_f64 v[132:133], v[132:133], v[146:147]
	v_fma_f64 v[146:147], v[106:107], s[24:25], -v[104:105]
	v_fmac_f64_e32 v[104:105], s[24:25], v[106:107]
	v_add_f64 v[96:97], v[96:97], -v[108:109]
	v_add_f64 v[40:41], v[104:105], v[40:41]
	v_add_f64 v[98:99], v[110:111], v[98:99]
	v_mul_f64 v[104:105], v[96:97], s[26:27]
	v_add_f64 v[130:131], v[130:131], v[144:145]
	v_fma_f64 v[144:145], v[106:107], s[2:3], -v[142:143]
	v_fmac_f64_e32 v[142:143], s[2:3], v[106:107]
	v_fma_f64 v[106:107], v[98:99], s[2:3], -v[104:105]
	v_fmac_f64_e32 v[104:105], s[2:3], v[98:99]
	v_mul_f64 v[108:109], v[96:97], s[30:31]
	v_add_f64 v[104:105], v[104:105], v[112:113]
	v_fma_f64 v[110:111], v[98:99], s[34:35], -v[108:109]
	v_fmac_f64_e32 v[108:109], s[34:35], v[98:99]
	v_mul_f64 v[112:113], v[96:97], s[46:47]
	v_add_f64 v[106:107], v[106:107], v[114:115]
	v_add_f64 v[108:109], v[108:109], v[116:117]
	v_fma_f64 v[114:115], v[98:99], s[14:15], -v[112:113]
	v_fmac_f64_e32 v[112:113], s[14:15], v[98:99]
	v_mul_f64 v[116:117], v[96:97], s[38:39]
	v_add_f64 v[110:111], v[110:111], v[118:119]
	;; [unrolled: 5-line block ×4, first 2 shown]
	v_add_f64 v[120:121], v[120:121], v[128:129]
	v_fma_f64 v[126:127], v[98:99], s[24:25], -v[124:125]
	v_fmac_f64_e32 v[124:125], s[24:25], v[98:99]
	v_mul_f64 v[128:129], v[96:97], s[50:51]
	v_mul_f64 v[96:97], v[96:97], s[42:43]
	v_add_f64 v[124:125], v[124:125], v[132:133]
	v_fma_f64 v[132:133], v[98:99], s[8:9], -v[96:97]
	v_fmac_f64_e32 v[96:97], s[8:9], v[98:99]
	v_add_f64 v[92:93], v[92:93], -v[100:101]
	v_add_f64 v[40:41], v[96:97], v[40:41]
	v_add_f64 v[94:95], v[102:103], v[94:95]
	v_mul_f64 v[96:97], v[92:93], s[12:13]
	v_add_f64 v[122:123], v[122:123], v[130:131]
	v_fma_f64 v[130:131], v[98:99], s[20:21], -v[128:129]
	v_fmac_f64_e32 v[128:129], s[20:21], v[98:99]
	v_fma_f64 v[98:99], v[94:95], s[14:15], -v[96:97]
	v_fmac_f64_e32 v[96:97], s[14:15], v[94:95]
	v_mul_f64 v[100:101], v[92:93], s[48:49]
	v_add_f64 v[96:97], v[96:97], v[104:105]
	v_fma_f64 v[102:103], v[94:95], s[24:25], -v[100:101]
	v_fmac_f64_e32 v[100:101], s[24:25], v[94:95]
	v_mul_f64 v[104:105], v[92:93], s[42:43]
	v_add_f64 v[98:99], v[98:99], v[106:107]
	v_add_f64 v[100:101], v[100:101], v[108:109]
	v_fma_f64 v[106:107], v[94:95], s[8:9], -v[104:105]
	v_fmac_f64_e32 v[104:105], s[8:9], v[94:95]
	v_mul_f64 v[108:109], v[92:93], s[40:41]
	v_add_f64 v[102:103], v[102:103], v[110:111]
	;; [unrolled: 5-line block ×4, first 2 shown]
	v_add_f64 v[112:113], v[112:113], v[120:121]
	v_fma_f64 v[118:119], v[94:95], s[2:3], -v[116:117]
	v_fmac_f64_e32 v[116:117], s[2:3], v[94:95]
	v_mul_f64 v[120:121], v[92:93], s[16:17]
	v_mul_f64 v[92:93], v[92:93], s[18:19]
	v_add_f64 v[84:85], v[84:85], -v[88:89]
	v_add_f64 v[116:117], v[116:117], v[124:125]
	v_fma_f64 v[124:125], v[94:95], s[20:21], -v[92:93]
	v_fmac_f64_e32 v[92:93], s[20:21], v[94:95]
	v_add_f64 v[86:87], v[90:91], v[86:87]
	v_mul_f64 v[88:89], v[84:85], s[18:19]
	v_add_f64 v[40:41], v[92:93], v[40:41]
	v_fma_f64 v[90:91], v[86:87], s[20:21], -v[88:89]
	v_fmac_f64_e32 v[88:89], s[20:21], v[86:87]
	v_mul_f64 v[92:93], v[84:85], s[46:47]
	v_add_f64 v[114:115], v[114:115], v[122:123]
	v_fma_f64 v[122:123], v[94:95], s[10:11], -v[120:121]
	v_fmac_f64_e32 v[120:121], s[10:11], v[94:95]
	v_add_f64 v[88:89], v[88:89], v[96:97]
	v_fma_f64 v[94:95], v[86:87], s[14:15], -v[92:93]
	v_fmac_f64_e32 v[92:93], s[14:15], v[86:87]
	v_mul_f64 v[96:97], v[84:85], s[16:17]
	v_add_f64 v[90:91], v[90:91], v[98:99]
	v_add_f64 v[92:93], v[92:93], v[100:101]
	v_fma_f64 v[98:99], v[86:87], s[10:11], -v[96:97]
	v_fmac_f64_e32 v[96:97], s[10:11], v[86:87]
	v_mul_f64 v[100:101], v[84:85], s[22:23]
	v_add_f64 v[94:95], v[94:95], v[102:103]
	;; [unrolled: 5-line block ×3, first 2 shown]
	v_add_f64 v[100:101], v[100:101], v[108:109]
	v_fma_f64 v[106:107], v[86:87], s[2:3], -v[104:105]
	v_fmac_f64_e32 v[104:105], s[2:3], v[86:87]
	v_mul_f64 v[108:109], v[84:85], s[28:29]
	v_add_f64 v[72:73], v[72:73], -v[80:81]
	v_add_f64 v[150:151], v[150:151], v[158:159]
	v_add_f64 v[102:103], v[102:103], v[110:111]
	;; [unrolled: 1-line block ×3, first 2 shown]
	v_fma_f64 v[110:111], v[86:87], s[8:9], -v[108:109]
	v_fmac_f64_e32 v[108:109], s[8:9], v[86:87]
	v_mul_f64 v[112:113], v[84:85], s[30:31]
	v_mul_f64 v[84:85], v[84:85], s[36:37]
	v_add_f64 v[74:75], v[82:83], v[74:75]
	v_mul_f64 v[80:81], v[72:73], s[22:23]
	v_add_f64 v[64:65], v[64:65], -v[68:69]
	v_add_f64 v[142:143], v[142:143], v[150:151]
	v_add_f64 v[108:109], v[108:109], v[116:117]
	v_fma_f64 v[116:117], v[86:87], s[6:7], -v[84:85]
	v_fmac_f64_e32 v[84:85], s[6:7], v[86:87]
	v_fma_f64 v[82:83], v[74:75], s[24:25], -v[80:81]
	v_fmac_f64_e32 v[80:81], s[24:25], v[74:75]
	v_add_f64 v[66:67], v[70:71], v[66:67]
	v_mul_f64 v[68:69], v[64:65], s[30:31]
	v_add_f64 v[128:129], v[128:129], v[142:143]
	v_add_f64 v[40:41], v[84:85], v[40:41]
	;; [unrolled: 1-line block ×3, first 2 shown]
	v_mul_f64 v[84:85], v[72:73], s[36:37]
	v_fma_f64 v[70:71], v[66:67], s[34:35], -v[68:69]
	v_fmac_f64_e32 v[68:69], s[34:35], v[66:67]
	v_add_f64 v[152:153], v[152:153], v[160:161]
	v_add_f64 v[120:121], v[120:121], v[128:129]
	;; [unrolled: 1-line block ×3, first 2 shown]
	v_fma_f64 v[114:115], v[86:87], s[34:35], -v[112:113]
	v_fmac_f64_e32 v[112:113], s[34:35], v[86:87]
	v_add_f64 v[82:83], v[82:83], v[90:91]
	v_fma_f64 v[86:87], v[74:75], s[6:7], -v[84:85]
	v_fmac_f64_e32 v[84:85], s[6:7], v[74:75]
	v_add_f64 v[128:129], v[68:69], v[80:81]
	v_mul_f64 v[68:69], v[64:65], s[38:39]
	v_add_f64 v[144:145], v[144:145], v[152:153]
	v_add_f64 v[112:113], v[112:113], v[120:121]
	;; [unrolled: 1-line block ×3, first 2 shown]
	v_mul_f64 v[88:89], v[72:73], s[26:27]
	v_add_f64 v[120:121], v[70:71], v[82:83]
	v_fma_f64 v[70:71], v[66:67], s[10:11], -v[68:69]
	v_fmac_f64_e32 v[68:69], s[10:11], v[66:67]
	v_add_f64 v[130:131], v[130:131], v[144:145]
	v_add_f64 v[86:87], v[86:87], v[94:95]
	v_fma_f64 v[90:91], v[74:75], s[2:3], -v[88:89]
	v_fmac_f64_e32 v[88:89], s[2:3], v[74:75]
	v_add_f64 v[144:145], v[68:69], v[84:85]
	v_mul_f64 v[68:69], v[64:65], s[22:23]
	v_add_f64 v[148:149], v[148:149], v[156:157]
	v_add_f64 v[154:155], v[154:155], v[162:163]
	;; [unrolled: 1-line block ×3, first 2 shown]
	v_mul_f64 v[92:93], v[72:73], s[50:51]
	v_add_f64 v[142:143], v[70:71], v[86:87]
	v_fma_f64 v[70:71], v[66:67], s[24:25], -v[68:69]
	v_fmac_f64_e32 v[68:69], s[24:25], v[66:67]
	v_add_f64 v[134:135], v[134:135], v[148:149]
	v_add_f64 v[146:147], v[146:147], v[154:155]
	;; [unrolled: 1-line block ×3, first 2 shown]
	v_fma_f64 v[94:95], v[74:75], s[20:21], -v[92:93]
	v_fmac_f64_e32 v[92:93], s[20:21], v[74:75]
	v_add_f64 v[148:149], v[68:69], v[88:89]
	v_mul_f64 v[68:69], v[64:65], s[42:43]
	v_add_f64 v[132:133], v[132:133], v[146:147]
	v_add_f64 v[92:93], v[92:93], v[100:101]
	v_mul_f64 v[96:97], v[72:73], s[16:17]
	v_add_f64 v[146:147], v[70:71], v[90:91]
	v_fma_f64 v[70:71], v[66:67], s[8:9], -v[68:69]
	v_fmac_f64_e32 v[68:69], s[8:9], v[66:67]
	v_add_f64 v[94:95], v[94:95], v[102:103]
	v_fma_f64 v[98:99], v[74:75], s[10:11], -v[96:97]
	v_fmac_f64_e32 v[96:97], s[10:11], v[74:75]
	v_add_f64 v[152:153], v[68:69], v[92:93]
	v_mul_f64 v[68:69], v[64:65], s[18:19]
	v_add_f64 v[126:127], v[126:127], v[134:135]
	v_add_f64 v[96:97], v[96:97], v[104:105]
	v_mul_f64 v[100:101], v[72:73], s[30:31]
	v_add_f64 v[150:151], v[70:71], v[94:95]
	v_fma_f64 v[70:71], v[66:67], s[20:21], -v[68:69]
	v_fmac_f64_e32 v[68:69], s[20:21], v[66:67]
	v_add_f64 v[118:119], v[118:119], v[126:127]
	v_add_f64 v[98:99], v[98:99], v[106:107]
	v_fma_f64 v[102:103], v[74:75], s[34:35], -v[100:101]
	v_fmac_f64_e32 v[100:101], s[34:35], v[74:75]
	v_add_f64 v[156:157], v[68:69], v[96:97]
	v_mul_f64 v[68:69], v[64:65], s[36:37]
	v_add_f64 v[110:111], v[110:111], v[118:119]
	v_add_f64 v[100:101], v[100:101], v[108:109]
	v_mul_f64 v[104:105], v[72:73], s[42:43]
	v_add_f64 v[154:155], v[70:71], v[98:99]
	v_fma_f64 v[70:71], v[66:67], s[6:7], -v[68:69]
	v_fmac_f64_e32 v[68:69], s[6:7], v[66:67]
	v_add_f64 v[102:103], v[102:103], v[110:111]
	v_fma_f64 v[106:107], v[74:75], s[8:9], -v[104:105]
	v_fmac_f64_e32 v[104:105], s[8:9], v[74:75]
	v_mul_f64 v[72:73], v[72:73], s[12:13]
	v_add_f64 v[160:161], v[68:69], v[100:101]
	v_mul_f64 v[68:69], v[64:65], s[12:13]
	v_add_f64 v[104:105], v[104:105], v[112:113]
	v_fma_f64 v[108:109], v[74:75], s[14:15], -v[72:73]
	v_fmac_f64_e32 v[72:73], s[14:15], v[74:75]
	v_add_f64 v[158:159], v[70:71], v[102:103]
	v_fma_f64 v[70:71], v[66:67], s[14:15], -v[68:69]
	v_fmac_f64_e32 v[68:69], s[14:15], v[66:67]
	v_mul_f64 v[64:65], v[64:65], s[44:45]
	v_add_f64 v[40:41], v[72:73], v[40:41]
	v_add_f64 v[164:165], v[68:69], v[104:105]
	v_fma_f64 v[68:69], v[66:67], s[2:3], -v[64:65]
	v_fmac_f64_e32 v[64:65], s[2:3], v[66:67]
	v_add_f64 v[122:123], v[122:123], v[130:131]
	v_add_f64 v[124:125], v[124:125], v[132:133]
	;; [unrolled: 1-line block ×3, first 2 shown]
	v_lshlrev_b32_e32 v40, 7, v138
	v_add_f64 v[114:115], v[114:115], v[122:123]
	v_add_f64 v[116:117], v[116:117], v[124:125]
	v_sub_u32_e32 v122, v184, v40
	v_add_u32_e32 v130, 0x165, v138
	v_add_f64 v[106:107], v[106:107], v[114:115]
	v_add_f64 v[108:109], v[108:109], v[116:117]
	v_add_u32_e32 v132, 0x800, v122
	v_add_u32_e32 v131, 0x1800, v122
	;; [unrolled: 1-line block ×7, first 2 shown]
	v_lshl_add_u32 v125, v130, 3, 0
	v_add_f64 v[162:163], v[70:71], v[106:107]
	v_add_f64 v[166:167], v[68:69], v[108:109]
	s_waitcnt lgkmcnt(0)
	; wave barrier
	s_waitcnt lgkmcnt(0)
	ds_read2_b64 v[80:83], v122 offset1:51
	ds_read2_b64 v[64:67], v132 offset0:152 offset1:203
	ds_read2_b64 v[112:115], v131 offset0:150 offset1:201
	;; [unrolled: 1-line block ×9, first 2 shown]
	v_lshl_add_u32 v124, v126, 3, 0
	ds_read2_b64 v[88:91], v135 offset0:200 offset1:251
	ds_read_b64 v[40:41], v125
	ds_read2_b64 v[84:87], v131 offset0:48 offset1:99
	ds_read_b64 v[116:117], v124
	ds_read_b64 v[118:119], v122 offset:10608
	v_add_u32_e32 v123, 51, v138
	s_waitcnt lgkmcnt(0)
	; wave barrier
	s_waitcnt lgkmcnt(0)
	ds_write2_b64 v184, v[140:141], v[120:121] offset1:1
	ds_write2_b64 v184, v[142:143], v[146:147] offset0:2 offset1:3
	ds_write2_b64 v184, v[150:151], v[154:155] offset0:4 offset1:5
	;; [unrolled: 1-line block ×7, first 2 shown]
	ds_write_b64 v184, v[128:129] offset:128
	s_and_saveexec_b64 s[2:3], vcc
	s_cbranch_execz .LBB0_17
; %bb.16:
	v_add_f64 v[120:121], v[58:59], v[42:43]
	v_add_f64 v[120:121], v[46:47], v[120:121]
	;; [unrolled: 1-line block ×13, first 2 shown]
	s_mov_b32 s18, 0x5d8e7cdc
	s_mov_b32 s30, 0xeb564b22
	;; [unrolled: 1-line block ×6, first 2 shown]
	v_add_f64 v[120:121], v[54:55], v[120:121]
	v_add_f64 v[56:57], v[56:57], -v[76:77]
	s_mov_b32 s19, 0xbfd71e95
	s_mov_b32 s12, 0x370991
	;; [unrolled: 1-line block ×14, first 2 shown]
	v_add_f64 v[120:121], v[62:63], v[120:121]
	v_add_f64 v[58:59], v[78:79], v[58:59]
	v_mul_f64 v[76:77], v[56:57], s[18:19]
	s_mov_b32 s13, 0x3fedd6d0
	v_mul_f64 v[128:129], v[56:57], s[28:29]
	s_mov_b32 s11, 0x3fe7a5f6
	;; [unrolled: 2-line block ×8, first 2 shown]
	v_add_f64 v[120:121], v[78:79], v[120:121]
	v_fma_f64 v[78:79], v[58:59], s[12:13], -v[76:77]
	v_fmac_f64_e32 v[76:77], s[12:13], v[58:59]
	v_fma_f64 v[140:141], v[58:59], s[10:11], -v[128:129]
	v_fmac_f64_e32 v[128:129], s[10:11], v[58:59]
	;; [unrolled: 2-line block ×8, first 2 shown]
	v_add_f64 v[44:45], v[44:45], -v[60:61]
	v_add_f64 v[78:79], v[42:43], v[78:79]
	v_add_f64 v[76:77], v[42:43], v[76:77]
	;; [unrolled: 1-line block ×17, first 2 shown]
	v_mul_f64 v[56:57], v[44:45], s[28:29]
	v_fma_f64 v[58:59], v[46:47], s[10:11], -v[56:57]
	v_fmac_f64_e32 v[56:57], s[10:11], v[46:47]
	v_mul_f64 v[60:61], v[44:45], s[30:31]
	v_add_f64 v[56:57], v[56:57], v[76:77]
	v_fma_f64 v[62:63], v[46:47], s[6:7], -v[60:61]
	v_fmac_f64_e32 v[60:61], s[6:7], v[46:47]
	v_mul_f64 v[76:77], v[44:45], s[20:21]
	v_add_f64 v[58:59], v[58:59], v[78:79]
	v_add_f64 v[60:61], v[60:61], v[128:129]
	v_fma_f64 v[78:79], v[46:47], s[22:23], -v[76:77]
	v_fmac_f64_e32 v[76:77], s[22:23], v[46:47]
	v_mul_f64 v[128:129], v[44:45], s[34:35]
	s_mov_b32 s48, s24
	v_add_f64 v[62:63], v[62:63], v[140:141]
	v_add_f64 v[76:77], v[76:77], v[142:143]
	v_fma_f64 v[140:141], v[46:47], s[36:37], -v[128:129]
	v_fmac_f64_e32 v[128:129], s[36:37], v[46:47]
	v_mul_f64 v[142:143], v[44:45], s[48:49]
	s_mov_b32 s46, s14
	;; [unrolled: 6-line block ×3, first 2 shown]
	s_mov_b32 s38, s40
	s_mov_b32 s43, 0x3fd71e95
	;; [unrolled: 1-line block ×3, first 2 shown]
	v_add_f64 v[140:141], v[140:141], v[148:149]
	v_add_f64 v[142:143], v[142:143], v[150:151]
	v_fma_f64 v[148:149], v[46:47], s[16:17], -v[146:147]
	v_fmac_f64_e32 v[146:147], s[16:17], v[46:47]
	v_mul_f64 v[150:151], v[44:45], s[38:39]
	v_mul_f64 v[44:45], v[44:45], s[42:43]
	v_add_f64 v[146:147], v[146:147], v[154:155]
	v_fma_f64 v[154:155], v[46:47], s[12:13], -v[44:45]
	v_fmac_f64_e32 v[44:45], s[12:13], v[46:47]
	v_add_f64 v[36:37], v[36:37], -v[52:53]
	v_add_f64 v[42:43], v[44:45], v[42:43]
	v_add_f64 v[38:39], v[54:55], v[38:39]
	v_mul_f64 v[44:45], v[36:37], s[40:41]
	v_add_f64 v[144:145], v[144:145], v[152:153]
	v_fma_f64 v[152:153], v[46:47], s[8:9], -v[150:151]
	v_fmac_f64_e32 v[150:151], s[8:9], v[46:47]
	v_fma_f64 v[46:47], v[38:39], s[8:9], -v[44:45]
	v_fmac_f64_e32 v[44:45], s[8:9], v[38:39]
	v_mul_f64 v[52:53], v[36:37], s[20:21]
	s_mov_b32 s45, 0x3fc7851a
	s_mov_b32 s44, s34
	v_add_f64 v[44:45], v[44:45], v[56:57]
	v_fma_f64 v[54:55], v[38:39], s[22:23], -v[52:53]
	v_fmac_f64_e32 v[52:53], s[22:23], v[38:39]
	v_mul_f64 v[56:57], v[36:37], s[44:45]
	v_add_f64 v[46:47], v[46:47], v[58:59]
	v_add_f64 v[52:53], v[52:53], v[60:61]
	v_fma_f64 v[58:59], v[38:39], s[36:37], -v[56:57]
	v_fmac_f64_e32 v[56:57], s[36:37], v[38:39]
	v_mul_f64 v[60:61], v[36:37], s[46:47]
	s_mov_b32 s45, 0x3fe58eea
	s_mov_b32 s44, s28
	v_add_f64 v[54:55], v[54:55], v[62:63]
	v_add_f64 v[56:57], v[56:57], v[76:77]
	v_fma_f64 v[62:63], v[38:39], s[16:17], -v[60:61]
	v_fmac_f64_e32 v[60:61], s[16:17], v[38:39]
	v_mul_f64 v[76:77], v[36:37], s[44:45]
	v_add_f64 v[58:59], v[58:59], v[78:79]
	v_add_f64 v[60:61], v[60:61], v[128:129]
	v_fma_f64 v[78:79], v[38:39], s[10:11], -v[76:77]
	v_fmac_f64_e32 v[76:77], s[10:11], v[38:39]
	v_mul_f64 v[128:129], v[36:37], s[18:19]
	;; [unrolled: 5-line block ×3, first 2 shown]
	v_mul_f64 v[36:37], v[36:37], s[24:25]
	v_add_f64 v[28:29], v[28:29], -v[48:49]
	v_add_f64 v[78:79], v[78:79], v[144:145]
	v_add_f64 v[128:129], v[128:129], v[146:147]
	v_fma_f64 v[144:145], v[38:39], s[6:7], -v[142:143]
	v_fmac_f64_e32 v[142:143], s[6:7], v[38:39]
	v_fma_f64 v[146:147], v[38:39], s[26:27], -v[36:37]
	v_fmac_f64_e32 v[36:37], s[26:27], v[38:39]
	v_add_f64 v[30:31], v[50:51], v[30:31]
	v_mul_f64 v[38:39], v[28:29], s[30:31]
	v_add_f64 v[36:37], v[36:37], v[42:43]
	v_fma_f64 v[42:43], v[30:31], s[6:7], -v[38:39]
	v_fmac_f64_e32 v[38:39], s[6:7], v[30:31]
	v_add_f64 v[38:39], v[38:39], v[44:45]
	v_mul_f64 v[44:45], v[28:29], s[34:35]
	v_add_f64 v[42:43], v[42:43], v[46:47]
	v_fma_f64 v[46:47], v[30:31], s[36:37], -v[44:45]
	v_fmac_f64_e32 v[44:45], s[36:37], v[30:31]
	v_mul_f64 v[48:49], v[28:29], s[46:47]
	v_add_f64 v[44:45], v[44:45], v[52:53]
	v_fma_f64 v[50:51], v[30:31], s[16:17], -v[48:49]
	v_fmac_f64_e32 v[48:49], s[16:17], v[30:31]
	v_mul_f64 v[52:53], v[28:29], s[42:43]
	v_add_f64 v[46:47], v[46:47], v[54:55]
	v_add_f64 v[48:49], v[48:49], v[56:57]
	v_fma_f64 v[54:55], v[30:31], s[12:13], -v[52:53]
	v_fmac_f64_e32 v[52:53], s[12:13], v[30:31]
	v_mul_f64 v[56:57], v[28:29], s[40:41]
	v_add_f64 v[50:51], v[50:51], v[58:59]
	v_add_f64 v[52:53], v[52:53], v[60:61]
	v_fma_f64 v[58:59], v[30:31], s[8:9], -v[56:57]
	v_fmac_f64_e32 v[56:57], s[8:9], v[30:31]
	v_mul_f64 v[60:61], v[28:29], s[24:25]
	s_mov_b32 s50, s20
	v_add_f64 v[54:55], v[54:55], v[62:63]
	v_add_f64 v[56:57], v[56:57], v[76:77]
	v_fma_f64 v[62:63], v[30:31], s[26:27], -v[60:61]
	v_fmac_f64_e32 v[60:61], s[26:27], v[30:31]
	v_mul_f64 v[76:77], v[28:29], s[50:51]
	v_mul_f64 v[28:29], v[28:29], s[44:45]
	v_add_f64 v[20:21], v[20:21], -v[32:33]
	v_add_f64 v[58:59], v[58:59], v[78:79]
	v_add_f64 v[60:61], v[60:61], v[128:129]
	v_fma_f64 v[78:79], v[30:31], s[22:23], -v[76:77]
	v_fmac_f64_e32 v[76:77], s[22:23], v[30:31]
	v_fma_f64 v[128:129], v[30:31], s[10:11], -v[28:29]
	v_fmac_f64_e32 v[28:29], s[10:11], v[30:31]
	v_add_f64 v[22:23], v[34:35], v[22:23]
	v_mul_f64 v[30:31], v[20:21], s[14:15]
	v_fma_f64 v[32:33], v[22:23], s[16:17], -v[30:31]
	v_fmac_f64_e32 v[30:31], s[16:17], v[22:23]
	v_mul_f64 v[34:35], v[20:21], s[48:49]
	v_add_f64 v[28:29], v[28:29], v[36:37]
	v_add_f64 v[30:31], v[30:31], v[38:39]
	v_fma_f64 v[36:37], v[22:23], s[26:27], -v[34:35]
	v_fmac_f64_e32 v[34:35], s[26:27], v[22:23]
	v_mul_f64 v[38:39], v[20:21], s[44:45]
	v_add_f64 v[32:33], v[32:33], v[42:43]
	v_add_f64 v[34:35], v[34:35], v[44:45]
	;; [unrolled: 5-line block ×3, first 2 shown]
	v_fma_f64 v[46:47], v[22:23], s[8:9], -v[44:45]
	v_fmac_f64_e32 v[44:45], s[8:9], v[22:23]
	v_mul_f64 v[48:49], v[20:21], s[34:35]
	s_mov_b32 s41, 0x3fefdd0d
	s_mov_b32 s40, s30
	v_add_f64 v[42:43], v[42:43], v[50:51]
	v_add_f64 v[44:45], v[44:45], v[52:53]
	v_fma_f64 v[50:51], v[22:23], s[36:37], -v[48:49]
	v_fmac_f64_e32 v[48:49], s[36:37], v[22:23]
	v_mul_f64 v[52:53], v[20:21], s[40:41]
	v_add_f64 v[46:47], v[46:47], v[54:55]
	v_add_f64 v[48:49], v[48:49], v[56:57]
	v_fma_f64 v[54:55], v[22:23], s[6:7], -v[52:53]
	v_fmac_f64_e32 v[52:53], s[6:7], v[22:23]
	v_mul_f64 v[56:57], v[20:21], s[18:19]
	v_mul_f64 v[20:21], v[20:21], s[20:21]
	v_add_f64 v[16:17], v[16:17], -v[24:25]
	v_add_f64 v[50:51], v[50:51], v[58:59]
	v_add_f64 v[52:53], v[52:53], v[60:61]
	v_fma_f64 v[58:59], v[22:23], s[12:13], -v[56:57]
	v_fmac_f64_e32 v[56:57], s[12:13], v[22:23]
	v_fma_f64 v[60:61], v[22:23], s[22:23], -v[20:21]
	v_fmac_f64_e32 v[20:21], s[22:23], v[22:23]
	v_add_f64 v[18:19], v[26:27], v[18:19]
	v_mul_f64 v[22:23], v[16:17], s[20:21]
	v_fma_f64 v[24:25], v[18:19], s[22:23], -v[22:23]
	v_fmac_f64_e32 v[22:23], s[22:23], v[18:19]
	v_mul_f64 v[26:27], v[16:17], s[46:47]
	v_add_f64 v[20:21], v[20:21], v[28:29]
	v_add_f64 v[22:23], v[22:23], v[30:31]
	v_fma_f64 v[28:29], v[18:19], s[16:17], -v[26:27]
	v_fmac_f64_e32 v[26:27], s[16:17], v[18:19]
	v_mul_f64 v[30:31], v[16:17], s[18:19]
	v_add_f64 v[24:25], v[24:25], v[32:33]
	v_add_f64 v[26:27], v[26:27], v[34:35]
	;; [unrolled: 5-line block ×4, first 2 shown]
	v_fma_f64 v[42:43], v[18:19], s[6:7], -v[38:39]
	v_fmac_f64_e32 v[38:39], s[6:7], v[18:19]
	v_mul_f64 v[44:45], v[16:17], s[28:29]
	v_add_f64 v[8:9], v[8:9], -v[12:13]
	v_add_f64 v[36:37], v[36:37], v[46:47]
	v_add_f64 v[38:39], v[38:39], v[48:49]
	v_fma_f64 v[46:47], v[18:19], s[10:11], -v[44:45]
	v_fmac_f64_e32 v[44:45], s[10:11], v[18:19]
	v_mul_f64 v[48:49], v[16:17], s[34:35]
	v_mul_f64 v[16:17], v[16:17], s[38:39]
	v_add_f64 v[10:11], v[14:15], v[10:11]
	v_mul_f64 v[12:13], v[8:9], s[24:25]
	v_add_f64 v[42:43], v[42:43], v[50:51]
	v_add_f64 v[44:45], v[44:45], v[52:53]
	v_fma_f64 v[50:51], v[18:19], s[36:37], -v[48:49]
	v_fmac_f64_e32 v[48:49], s[36:37], v[18:19]
	v_fma_f64 v[52:53], v[18:19], s[8:9], -v[16:17]
	v_fmac_f64_e32 v[16:17], s[8:9], v[18:19]
	;; [unrolled: 2-line block ×3, first 2 shown]
	v_mul_f64 v[18:19], v[8:9], s[38:39]
	v_add_f64 v[16:17], v[16:17], v[20:21]
	v_add_f64 v[12:13], v[12:13], v[22:23]
	v_fma_f64 v[20:21], v[10:11], s[8:9], -v[18:19]
	v_fmac_f64_e32 v[18:19], s[8:9], v[10:11]
	v_mul_f64 v[22:23], v[8:9], s[30:31]
	v_add_f64 v[14:15], v[14:15], v[24:25]
	v_add_f64 v[18:19], v[18:19], v[26:27]
	v_fma_f64 v[24:25], v[10:11], s[6:7], -v[22:23]
	v_fmac_f64_e32 v[22:23], s[6:7], v[10:11]
	;; [unrolled: 5-line block ×4, first 2 shown]
	v_mul_f64 v[34:35], v[8:9], s[34:35]
	v_add_f64 v[0:1], v[0:1], -v[4:5]
	v_add_f64 v[28:29], v[28:29], v[36:37]
	v_add_f64 v[30:31], v[30:31], v[38:39]
	v_fma_f64 v[36:37], v[10:11], s[36:37], -v[34:35]
	v_fmac_f64_e32 v[34:35], s[36:37], v[10:11]
	v_mul_f64 v[38:39], v[8:9], s[44:45]
	v_mul_f64 v[8:9], v[8:9], s[14:15]
	v_add_f64 v[2:3], v[6:7], v[2:3]
	v_mul_f64 v[4:5], v[0:1], s[34:35]
	v_add_f64 v[32:33], v[32:33], v[42:43]
	v_add_f64 v[34:35], v[34:35], v[44:45]
	v_fma_f64 v[42:43], v[10:11], s[10:11], -v[38:39]
	v_fmac_f64_e32 v[38:39], s[10:11], v[10:11]
	v_fma_f64 v[44:45], v[10:11], s[16:17], -v[8:9]
	v_fmac_f64_e32 v[8:9], s[16:17], v[10:11]
	;; [unrolled: 2-line block ×3, first 2 shown]
	v_mul_f64 v[10:11], v[0:1], s[42:43]
	v_add_f64 v[6:7], v[6:7], v[14:15]
	v_add_f64 v[4:5], v[4:5], v[12:13]
	v_fma_f64 v[12:13], v[2:3], s[12:13], -v[10:11]
	v_fmac_f64_e32 v[10:11], s[12:13], v[2:3]
	v_mul_f64 v[14:15], v[0:1], s[24:25]
	v_add_f64 v[148:149], v[148:149], v[156:157]
	v_add_f64 v[152:153], v[152:153], v[160:161]
	v_add_f64 v[150:151], v[150:151], v[158:159]
	v_add_f64 v[154:155], v[154:155], v[162:163]
	v_add_f64 v[8:9], v[8:9], v[16:17]
	v_add_f64 v[10:11], v[10:11], v[18:19]
	v_fma_f64 v[16:17], v[2:3], s[26:27], -v[14:15]
	v_fmac_f64_e32 v[14:15], s[26:27], v[2:3]
	v_mul_f64 v[18:19], v[0:1], s[44:45]
	v_add_f64 v[140:141], v[140:141], v[148:149]
	v_add_f64 v[144:145], v[144:145], v[152:153]
	v_add_f64 v[142:143], v[142:143], v[150:151]
	v_add_f64 v[146:147], v[146:147], v[154:155]
	;; [unrolled: 9-line block ×4, first 2 shown]
	v_add_f64 v[20:21], v[20:21], v[28:29]
	v_add_f64 v[22:23], v[22:23], v[30:31]
	v_fma_f64 v[28:29], v[2:3], s[8:9], -v[26:27]
	v_fmac_f64_e32 v[26:27], s[8:9], v[2:3]
	v_mul_f64 v[30:31], v[0:1], s[14:15]
	v_mul_f64 v[0:1], v[0:1], s[40:41]
	v_add_f64 v[46:47], v[46:47], v[54:55]
	v_add_f64 v[50:51], v[50:51], v[58:59]
	;; [unrolled: 1-line block ×5, first 2 shown]
	v_fma_f64 v[34:35], v[2:3], s[6:7], -v[0:1]
	v_fmac_f64_e32 v[0:1], s[6:7], v[2:3]
	s_movk_i32 s6, 0x88
	v_add_f64 v[36:37], v[36:37], v[46:47]
	v_add_f64 v[42:43], v[42:43], v[50:51]
	;; [unrolled: 1-line block ×5, first 2 shown]
	v_fma_f64 v[32:33], v[2:3], s[16:17], -v[30:31]
	v_fmac_f64_e32 v[30:31], s[16:17], v[2:3]
	v_mad_u32_u24 v2, v123, s6, 0
	v_add_f64 v[28:29], v[28:29], v[36:37]
	v_add_f64 v[32:33], v[32:33], v[42:43]
	;; [unrolled: 1-line block ×5, first 2 shown]
	ds_write2_b64 v2, v[120:121], v[6:7] offset1:1
	ds_write2_b64 v2, v[12:13], v[16:17] offset0:2 offset1:3
	ds_write2_b64 v2, v[20:21], v[24:25] offset0:4 offset1:5
	ds_write2_b64 v2, v[28:29], v[32:33] offset0:6 offset1:7
	ds_write2_b64 v2, v[34:35], v[0:1] offset0:8 offset1:9
	ds_write2_b64 v2, v[30:31], v[26:27] offset0:10 offset1:11
	ds_write2_b64 v2, v[22:23], v[18:19] offset0:12 offset1:13
	ds_write2_b64 v2, v[14:15], v[10:11] offset0:14 offset1:15
	ds_write_b64 v2, v[4:5] offset:128
.LBB0_17:
	s_or_b64 exec, exec, s[2:3]
	s_movk_i32 s2, 0xf1
	v_mul_lo_u16_sdwa v0, v138, s2 dst_sel:DWORD dst_unused:UNUSED_PAD src0_sel:BYTE_0 src1_sel:DWORD
	v_lshrrev_b16_e32 v8, 12, v0
	v_mul_lo_u16_e32 v0, 17, v8
	v_sub_u16_e32 v9, v138, v0
	v_mov_b32_e32 v4, 5
	v_lshlrev_b32_sdwa v5, v4, v9 dst_sel:DWORD dst_unused:UNUSED_PAD src0_sel:DWORD src1_sel:BYTE_0
	s_waitcnt lgkmcnt(0)
	; wave barrier
	s_waitcnt lgkmcnt(0)
	global_load_dwordx4 v[14:17], v5, s[4:5]
	global_load_dwordx4 v[0:3], v5, s[4:5] offset:16
	v_mul_lo_u16_sdwa v5, v123, s2 dst_sel:DWORD dst_unused:UNUSED_PAD src0_sel:BYTE_0 src1_sel:DWORD
	v_lshrrev_b16_e32 v26, 12, v5
	v_mul_lo_u16_e32 v5, 17, v26
	v_sub_u16_e32 v27, v123, v5
	v_lshlrev_b32_sdwa v5, v4, v27 dst_sel:DWORD dst_unused:UNUSED_PAD src0_sel:DWORD src1_sel:BYTE_0
	v_add_u32_e32 v140, 0x66, v138
	global_load_dwordx4 v[18:21], v5, s[4:5] offset:16
	global_load_dwordx4 v[22:25], v5, s[4:5]
	v_mul_lo_u16_sdwa v5, v140, s2 dst_sel:DWORD dst_unused:UNUSED_PAD src0_sel:BYTE_0 src1_sel:DWORD
	v_lshrrev_b16_e32 v206, 12, v5
	v_mul_lo_u16_e32 v5, 17, v206
	v_sub_u16_e32 v207, v140, v5
	v_lshlrev_b32_sdwa v5, v4, v207 dst_sel:DWORD dst_unused:UNUSED_PAD src0_sel:DWORD src1_sel:BYTE_0
	v_add_u32_e32 v141, 0x99, v138
	global_load_dwordx4 v[28:31], v5, s[4:5] offset:16
	global_load_dwordx4 v[32:35], v5, s[4:5]
	v_mul_lo_u16_sdwa v5, v141, s2 dst_sel:DWORD dst_unused:UNUSED_PAD src0_sel:BYTE_0 src1_sel:DWORD
	v_lshrrev_b16_e32 v208, 12, v5
	v_mul_lo_u16_e32 v5, 17, v208
	v_sub_u16_e32 v209, v141, v5
	v_lshlrev_b32_sdwa v5, v4, v209 dst_sel:DWORD dst_unused:UNUSED_PAD src0_sel:DWORD src1_sel:BYTE_0
	v_add_u32_e32 v127, 0xcc, v138
	global_load_dwordx4 v[36:39], v5, s[4:5] offset:16
	global_load_dwordx4 v[42:45], v5, s[4:5]
	v_mul_lo_u16_sdwa v5, v127, s2 dst_sel:DWORD dst_unused:UNUSED_PAD src0_sel:BYTE_0 src1_sel:DWORD
	v_lshrrev_b16_e32 v210, 12, v5
	v_mul_lo_u16_e32 v5, 17, v210
	v_sub_u16_e32 v211, v127, v5
	v_lshlrev_b32_sdwa v4, v4, v211 dst_sel:DWORD dst_unused:UNUSED_PAD src0_sel:DWORD src1_sel:BYTE_0
	v_add_u32_e32 v128, 0xff, v138
	s_mov_b32 s2, 0xf0f1
	global_load_dwordx4 v[46:49], v4, s[4:5] offset:16
	global_load_dwordx4 v[50:53], v4, s[4:5]
	v_mul_u32_u24_sdwa v4, v128, s2 dst_sel:DWORD dst_unused:UNUSED_PAD src0_sel:WORD_0 src1_sel:DWORD
	v_lshrrev_b32_e32 v212, 20, v4
	v_mul_lo_u16_e32 v4, 17, v212
	v_sub_u16_e32 v213, v128, v4
	v_lshlrev_b32_e32 v4, 5, v213
	global_load_dwordx4 v[54:57], v4, s[4:5]
	global_load_dwordx4 v[142:145], v4, s[4:5] offset:16
	v_mul_u32_u24_sdwa v4, v126, s2 dst_sel:DWORD dst_unused:UNUSED_PAD src0_sel:WORD_0 src1_sel:DWORD
	v_lshrrev_b32_e32 v214, 20, v4
	v_mul_lo_u16_e32 v4, 17, v214
	v_sub_u16_e32 v215, v126, v4
	v_lshlrev_b32_e32 v4, 5, v215
	global_load_dwordx4 v[146:149], v4, s[4:5] offset:16
	global_load_dwordx4 v[150:153], v4, s[4:5]
	v_mul_u32_u24_sdwa v4, v130, s2 dst_sel:DWORD dst_unused:UNUSED_PAD src0_sel:WORD_0 src1_sel:DWORD
	v_lshrrev_b32_e32 v216, 20, v4
	v_mul_lo_u16_e32 v4, 17, v216
	v_sub_u16_e32 v217, v130, v4
	v_lshlrev_b32_e32 v4, 5, v217
	v_add_u32_e32 v129, 0x198, v138
	global_load_dwordx4 v[154:157], v4, s[4:5] offset:16
	global_load_dwordx4 v[158:161], v4, s[4:5]
	v_mul_u32_u24_sdwa v4, v129, s2 dst_sel:DWORD dst_unused:UNUSED_PAD src0_sel:WORD_0 src1_sel:DWORD
	v_lshrrev_b32_e32 v218, 20, v4
	v_mul_lo_u16_e32 v4, 17, v218
	v_sub_u16_e32 v219, v129, v4
	v_lshlrev_b32_e32 v4, 5, v219
	global_load_dwordx4 v[162:165], v4, s[4:5] offset:16
	global_load_dwordx4 v[166:169], v4, s[4:5]
	ds_read2_b64 v[58:61], v122 offset1:51
	ds_read2_b64 v[4:7], v132 offset0:152 offset1:203
	ds_read2_b64 v[170:173], v131 offset0:150 offset1:201
	;; [unrolled: 1-line block ×10, first 2 shown]
	ds_read_b64 v[62:63], v125
	ds_read2_b64 v[198:201], v131 offset0:48 offset1:99
	ds_read_b64 v[120:121], v124
	ds_read_b64 v[202:203], v122 offset:10608
	s_mov_b32 s2, 0xe8584caa
	s_mov_b32 s3, 0xbfebb67a
	s_mov_b32 s7, 0x3febb67a
	s_mov_b32 s6, s2
	v_mul_u32_u24_e32 v8, 0x198, v8
	s_waitcnt lgkmcnt(0)
	; wave barrier
	s_waitcnt lgkmcnt(0)
	s_mov_b32 s9, 0x5040100
	s_movk_i32 s8, 0x198
	s_mov_b32 s24, 0x523c161c
	s_mov_b32 s12, 0xa2cf5039
	s_mov_b32 s25, 0x3fe491b7
	s_mov_b32 s13, 0x3fe8836f
	s_mov_b32 s16, 0x7e0b738b
	s_mov_b32 s17, 0x3fc63a1a
	s_mov_b32 s10, 0xe8584cab
	s_mov_b32 s11, s7
	s_mov_b32 s14, 0x748a0bf8
	s_mov_b32 s18, 0x42522d1b
	s_mov_b32 s15, 0x3fd5e3a8
	s_mov_b32 s19, 0xbfee11f6
	s_mov_b32 s21, 0xbfe491b7
	s_mov_b32 s20, s24
	s_waitcnt vmcnt(17)
	v_mul_f64 v[204:205], v[6:7], v[16:17]
	v_mul_f64 v[16:17], v[66:67], v[16:17]
	v_fmac_f64_e32 v[204:205], v[66:67], v[14:15]
	v_fma_f64 v[6:7], v[6:7], v[14:15], -v[16:17]
	s_waitcnt vmcnt(16)
	v_mul_f64 v[14:15], v[170:171], v[2:3]
	v_mul_f64 v[2:3], v[112:113], v[2:3]
	v_fmac_f64_e32 v[14:15], v[112:113], v[0:1]
	v_fma_f64 v[0:1], v[170:171], v[0:1], -v[2:3]
	;; [unrolled: 5-line block ×3, first 2 shown]
	v_mul_f64 v[22:23], v[172:173], v[20:21]
	v_mul_f64 v[20:21], v[114:115], v[20:21]
	v_fmac_f64_e32 v[22:23], v[114:115], v[18:19]
	v_fma_f64 v[18:19], v[172:173], v[18:19], -v[20:21]
	s_waitcnt vmcnt(12)
	v_mul_f64 v[20:21], v[176:177], v[34:35]
	v_mul_f64 v[24:25], v[110:111], v[34:35]
	v_fmac_f64_e32 v[20:21], v[110:111], v[32:33]
	v_fma_f64 v[24:25], v[176:177], v[32:33], -v[24:25]
	v_mul_f64 v[32:33], v[178:179], v[30:31]
	v_mul_f64 v[30:31], v[104:105], v[30:31]
	v_fmac_f64_e32 v[32:33], v[104:105], v[28:29]
	v_fma_f64 v[28:29], v[178:179], v[28:29], -v[30:31]
	s_waitcnt vmcnt(10)
	v_mul_f64 v[30:31], v[182:183], v[44:45]
	v_mul_f64 v[34:35], v[100:101], v[44:45]
	v_fmac_f64_e32 v[30:31], v[100:101], v[42:43]
	v_fma_f64 v[34:35], v[182:183], v[42:43], -v[34:35]
	v_mul_f64 v[42:43], v[180:181], v[38:39]
	v_add_f64 v[108:109], v[204:205], v[14:15]
	v_fmac_f64_e32 v[42:43], v[106:107], v[36:37]
	v_mul_f64 v[38:39], v[106:107], v[38:39]
	v_add_f64 v[106:107], v[80:81], v[204:205]
	v_fma_f64 v[80:81], -0.5, v[108:109], v[80:81]
	v_add_f64 v[108:109], v[6:7], -v[0:1]
	v_fma_f64 v[110:111], s[2:3], v[108:109], v[80:81]
	v_fmac_f64_e32 v[80:81], s[6:7], v[108:109]
	v_add_f64 v[108:109], v[58:59], v[6:7]
	v_add_f64 v[108:109], v[108:109], v[0:1]
	;; [unrolled: 1-line block ×3, first 2 shown]
	v_fma_f64 v[6:7], -0.5, v[0:1], v[58:59]
	v_add_f64 v[0:1], v[204:205], -v[14:15]
	v_add_f64 v[58:59], v[2:3], v[22:23]
	v_add_f64 v[106:107], v[106:107], v[14:15]
	v_fma_f64 v[14:15], s[6:7], v[0:1], v[6:7]
	v_fmac_f64_e32 v[6:7], s[2:3], v[0:1]
	v_add_f64 v[0:1], v[82:83], v[2:3]
	v_fmac_f64_e32 v[82:83], -0.5, v[58:59]
	v_add_f64 v[58:59], v[16:17], -v[18:19]
	v_fma_f64 v[112:113], s[2:3], v[58:59], v[82:83]
	v_fmac_f64_e32 v[82:83], s[6:7], v[58:59]
	v_add_f64 v[58:59], v[60:61], v[16:17]
	v_add_f64 v[16:17], v[16:17], v[18:19]
	v_fma_f64 v[36:37], v[180:181], v[36:37], -v[38:39]
	s_waitcnt vmcnt(8)
	v_mul_f64 v[38:39], v[184:185], v[52:53]
	v_mul_f64 v[44:45], v[102:103], v[52:53]
	v_fmac_f64_e32 v[60:61], -0.5, v[16:17]
	v_add_f64 v[16:17], v[20:21], v[32:33]
	v_fmac_f64_e32 v[38:39], v[102:103], v[50:51]
	v_fma_f64 v[44:45], v[184:185], v[50:51], -v[44:45]
	v_mul_f64 v[50:51], v[186:187], v[48:49]
	v_mul_f64 v[48:49], v[96:97], v[48:49]
	v_add_f64 v[114:115], v[58:59], v[18:19]
	v_fma_f64 v[16:17], -0.5, v[16:17], v[72:73]
	v_add_f64 v[18:19], v[24:25], -v[28:29]
	v_fmac_f64_e32 v[50:51], v[96:97], v[46:47]
	v_fma_f64 v[46:47], v[186:187], v[46:47], -v[48:49]
	s_waitcnt vmcnt(7)
	v_mul_f64 v[48:49], v[190:191], v[56:57]
	v_mul_f64 v[52:53], v[92:93], v[56:57]
	s_waitcnt vmcnt(1)
	v_mul_f64 v[102:103], v[202:203], v[164:165]
	v_add_f64 v[0:1], v[0:1], v[22:23]
	v_add_f64 v[2:3], v[2:3], -v[22:23]
	v_fma_f64 v[22:23], s[2:3], v[18:19], v[16:17]
	v_fmac_f64_e32 v[16:17], s[6:7], v[18:19]
	v_add_f64 v[18:19], v[76:77], v[24:25]
	v_fmac_f64_e32 v[48:49], v[92:93], v[54:55]
	v_fma_f64 v[52:53], v[190:191], v[54:55], -v[52:53]
	v_mul_f64 v[54:55], v[188:189], v[144:145]
	v_mul_f64 v[56:57], v[98:99], v[144:145]
	v_fmac_f64_e32 v[102:103], v[118:119], v[162:163]
	v_mul_f64 v[104:105], v[118:119], v[164:165]
	v_fma_f64 v[118:119], s[6:7], v[2:3], v[60:61]
	v_fmac_f64_e32 v[60:61], s[2:3], v[2:3]
	v_add_f64 v[2:3], v[72:73], v[20:21]
	v_add_f64 v[72:73], v[18:19], v[28:29]
	;; [unrolled: 1-line block ×3, first 2 shown]
	v_fmac_f64_e32 v[54:55], v[98:99], v[142:143]
	v_fma_f64 v[56:57], v[188:189], v[142:143], -v[56:57]
	v_mul_f64 v[66:67], v[192:193], v[152:153]
	v_fma_f64 v[142:143], -0.5, v[18:19], v[76:77]
	v_add_f64 v[18:19], v[20:21], -v[32:33]
	v_add_f64 v[20:21], v[30:31], v[42:43]
	v_fmac_f64_e32 v[66:67], v[94:95], v[150:151]
	v_mul_f64 v[92:93], v[94:95], v[152:153]
	v_mul_f64 v[94:95], v[194:195], v[148:149]
	v_fma_f64 v[144:145], s[6:7], v[18:19], v[142:143]
	v_fmac_f64_e32 v[142:143], s[2:3], v[18:19]
	v_add_f64 v[18:19], v[74:75], v[30:31]
	v_fmac_f64_e32 v[74:75], -0.5, v[20:21]
	v_add_f64 v[20:21], v[34:35], -v[36:37]
	v_fmac_f64_e32 v[94:95], v[88:89], v[146:147]
	v_mul_f64 v[88:89], v[88:89], v[148:149]
	v_fma_f64 v[24:25], s[2:3], v[20:21], v[74:75]
	v_fmac_f64_e32 v[74:75], s[6:7], v[20:21]
	v_add_f64 v[20:21], v[78:79], v[34:35]
	v_fma_f64 v[88:89], v[194:195], v[146:147], -v[88:89]
	v_add_f64 v[146:147], v[20:21], v[36:37]
	v_add_f64 v[20:21], v[34:35], v[36:37]
	;; [unrolled: 1-line block ×3, first 2 shown]
	v_fmac_f64_e32 v[78:79], -0.5, v[20:21]
	v_add_f64 v[20:21], v[30:31], -v[42:43]
	v_fma_f64 v[28:29], -0.5, v[28:29], v[68:69]
	v_add_f64 v[30:31], v[44:45], -v[46:47]
	v_add_f64 v[2:3], v[2:3], v[32:33]
	v_fma_f64 v[32:33], s[2:3], v[30:31], v[28:29]
	v_fmac_f64_e32 v[28:29], s[6:7], v[30:31]
	v_add_f64 v[30:31], v[10:11], v[44:45]
	v_fma_f64 v[148:149], s[6:7], v[20:21], v[78:79]
	v_fmac_f64_e32 v[78:79], s[2:3], v[20:21]
	v_add_f64 v[20:21], v[68:69], v[38:39]
	v_add_f64 v[68:69], v[30:31], v[46:47]
	;; [unrolled: 1-line block ×3, first 2 shown]
	v_fma_f64 v[92:93], v[192:193], v[150:151], -v[92:93]
	v_fma_f64 v[150:151], -0.5, v[30:31], v[10:11]
	v_add_f64 v[10:11], v[38:39], -v[50:51]
	v_add_f64 v[30:31], v[48:49], v[54:55]
	v_mul_f64 v[98:99], v[196:197], v[156:157]
	v_fma_f64 v[152:153], s[6:7], v[10:11], v[150:151]
	v_fmac_f64_e32 v[150:151], s[2:3], v[10:11]
	v_add_f64 v[10:11], v[70:71], v[48:49]
	v_fmac_f64_e32 v[70:71], -0.5, v[30:31]
	v_add_f64 v[30:31], v[52:53], -v[56:57]
	v_fmac_f64_e32 v[98:99], v[90:91], v[154:155]
	v_mul_f64 v[90:91], v[90:91], v[156:157]
	v_fma_f64 v[34:35], s[2:3], v[30:31], v[70:71]
	v_fmac_f64_e32 v[70:71], s[6:7], v[30:31]
	v_add_f64 v[30:31], v[12:13], v[52:53]
	v_fma_f64 v[90:91], v[196:197], v[154:155], -v[90:91]
	v_add_f64 v[154:155], v[30:31], v[56:57]
	v_add_f64 v[30:31], v[52:53], v[56:57]
	v_fmac_f64_e32 v[12:13], -0.5, v[30:31]
	v_add_f64 v[30:31], v[48:49], -v[54:55]
	v_add_f64 v[36:37], v[66:67], v[94:95]
	v_mul_f64 v[96:97], v[198:199], v[160:161]
	v_fma_f64 v[156:157], s[6:7], v[30:31], v[12:13]
	v_fmac_f64_e32 v[12:13], s[2:3], v[30:31]
	v_add_f64 v[30:31], v[116:117], v[66:67]
	v_fmac_f64_e32 v[116:117], -0.5, v[36:37]
	v_add_f64 v[36:37], v[92:93], -v[88:89]
	v_fmac_f64_e32 v[96:97], v[84:85], v[158:159]
	v_mul_f64 v[84:85], v[84:85], v[160:161]
	v_fma_f64 v[38:39], s[2:3], v[36:37], v[116:117]
	v_fmac_f64_e32 v[116:117], s[6:7], v[36:37]
	v_add_f64 v[36:37], v[120:121], v[92:93]
	v_fma_f64 v[84:85], v[198:199], v[158:159], -v[84:85]
	v_add_f64 v[158:159], v[36:37], v[88:89]
	v_add_f64 v[36:37], v[92:93], v[88:89]
	;; [unrolled: 1-line block ×3, first 2 shown]
	v_fmac_f64_e32 v[120:121], -0.5, v[36:37]
	v_add_f64 v[36:37], v[66:67], -v[94:95]
	v_add_f64 v[42:43], v[96:97], v[98:99]
	v_fma_f64 v[66:67], s[6:7], v[36:37], v[120:121]
	v_fmac_f64_e32 v[120:121], s[2:3], v[36:37]
	v_add_f64 v[36:37], v[40:41], v[96:97]
	v_fmac_f64_e32 v[40:41], -0.5, v[42:43]
	v_add_f64 v[42:43], v[84:85], -v[90:91]
	s_waitcnt vmcnt(0)
	v_mul_f64 v[100:101], v[200:201], v[168:169]
	v_fma_f64 v[44:45], s[2:3], v[42:43], v[40:41]
	v_fmac_f64_e32 v[40:41], s[6:7], v[42:43]
	v_add_f64 v[42:43], v[62:63], v[84:85]
	v_fmac_f64_e32 v[100:101], v[86:87], v[166:167]
	v_mul_f64 v[86:87], v[86:87], v[168:169]
	v_add_f64 v[88:89], v[42:43], v[90:91]
	v_add_f64 v[42:43], v[84:85], v[90:91]
	v_fma_f64 v[86:87], v[200:201], v[166:167], -v[86:87]
	v_fma_f64 v[104:105], v[202:203], v[162:163], -v[104:105]
	v_fmac_f64_e32 v[62:63], -0.5, v[42:43]
	v_add_f64 v[42:43], v[96:97], -v[98:99]
	v_add_f64 v[46:47], v[100:101], v[102:103]
	v_fma_f64 v[84:85], s[6:7], v[42:43], v[62:63]
	v_fmac_f64_e32 v[62:63], s[2:3], v[42:43]
	v_add_f64 v[42:43], v[64:65], v[100:101]
	v_fmac_f64_e32 v[64:65], -0.5, v[46:47]
	v_add_f64 v[46:47], v[86:87], -v[104:105]
	v_fma_f64 v[48:49], s[2:3], v[46:47], v[64:65]
	v_fmac_f64_e32 v[64:65], s[6:7], v[46:47]
	v_add_f64 v[46:47], v[4:5], v[86:87]
	v_add_f64 v[90:91], v[46:47], v[104:105]
	;; [unrolled: 1-line block ×3, first 2 shown]
	v_fmac_f64_e32 v[4:5], -0.5, v[46:47]
	v_add_f64 v[46:47], v[100:101], -v[102:103]
	v_fma_f64 v[86:87], s[6:7], v[46:47], v[4:5]
	v_fmac_f64_e32 v[4:5], s[2:3], v[46:47]
	v_mov_b32_e32 v46, 3
	v_lshlrev_b32_sdwa v9, v46, v9 dst_sel:DWORD dst_unused:UNUSED_PAD src0_sel:DWORD src1_sel:BYTE_0
	v_add3_u32 v92, 0, v8, v9
	v_mul_u32_u24_e32 v8, 0x198, v26
	v_lshlrev_b32_sdwa v9, v46, v27 dst_sel:DWORD dst_unused:UNUSED_PAD src0_sel:DWORD src1_sel:BYTE_0
	ds_write2_b64 v92, v[106:107], v[110:111] offset1:17
	ds_write_b64 v92, v[80:81] offset:272
	v_add3_u32 v80, 0, v8, v9
	ds_write2_b64 v80, v[0:1], v[112:113] offset1:17
	ds_write_b64 v80, v[82:83] offset:272
	v_mul_u32_u24_e32 v0, 0x198, v206
	v_lshlrev_b32_sdwa v1, v46, v207 dst_sel:DWORD dst_unused:UNUSED_PAD src0_sel:DWORD src1_sel:BYTE_0
	v_add3_u32 v81, 0, v0, v1
	v_mul_u32_u24_e32 v0, 0x198, v208
	v_lshlrev_b32_sdwa v1, v46, v209 dst_sel:DWORD dst_unused:UNUSED_PAD src0_sel:DWORD src1_sel:BYTE_0
	v_add3_u32 v82, 0, v0, v1
	v_mul_u32_u24_e32 v0, 0x198, v210
	v_lshlrev_b32_sdwa v1, v46, v211 dst_sel:DWORD dst_unused:UNUSED_PAD src0_sel:DWORD src1_sel:BYTE_0
	ds_write2_b64 v81, v[2:3], v[22:23] offset1:17
	ds_write_b64 v81, v[16:17] offset:272
	ds_write2_b64 v82, v[18:19], v[24:25] offset1:17
	ds_write_b64 v82, v[74:75] offset:272
	v_add3_u32 v74, 0, v0, v1
	v_mul_u32_u24_e32 v0, 0x198, v212
	v_lshlrev_b32_e32 v1, 3, v213
	v_add3_u32 v75, 0, v0, v1
	v_perm_b32 v0, v216, v214, s9
	v_pk_mul_lo_u16 v0, v0, s8 op_sel_hi:[1,0]
	v_add_f64 v[20:21], v[20:21], v[50:51]
	v_add_f64 v[10:11], v[10:11], v[54:55]
	v_and_b32_e32 v1, 0xfff8, v0
	v_lshlrev_b32_e32 v2, 3, v215
	ds_write2_b64 v74, v[20:21], v[32:33] offset1:17
	ds_write_b64 v74, v[28:29] offset:272
	ds_write2_b64 v75, v[10:11], v[34:35] offset1:17
	ds_write_b64 v75, v[70:71] offset:272
	v_add3_u32 v70, 0, v1, v2
	v_lshrrev_b32_e32 v0, 16, v0
	v_lshlrev_b32_e32 v1, 3, v217
	v_add3_u32 v71, 0, v0, v1
	v_mul_u32_u24_e32 v0, 0x198, v218
	v_lshlrev_b32_e32 v1, 3, v219
	v_add_f64 v[30:31], v[30:31], v[94:95]
	v_add_f64 v[36:37], v[36:37], v[98:99]
	;; [unrolled: 1-line block ×3, first 2 shown]
	v_add3_u32 v83, 0, v0, v1
	v_add_u32_e32 v93, 0x1400, v122
	v_add_u32_e32 v94, 0x2400, v122
	v_lshlrev_b32_e32 v106, 3, v138
	v_mov_b32_e32 v107, 0
	ds_write2_b64 v70, v[30:31], v[38:39] offset1:17
	ds_write_b64 v70, v[116:117] offset:272
	ds_write2_b64 v71, v[36:37], v[44:45] offset1:17
	ds_write_b64 v71, v[40:41] offset:272
	;; [unrolled: 2-line block ×3, first 2 shown]
	s_waitcnt lgkmcnt(0)
	; wave barrier
	s_waitcnt lgkmcnt(0)
	ds_read2_b64 v[8:11], v122 offset1:51
	ds_read2_b64 v[0:3], v122 offset0:102 offset1:153
	ds_read_b64 v[76:77], v124
	ds_read2_b64 v[56:59], v132 offset0:203 offset1:254
	ds_read2_b64 v[32:35], v134 offset0:49 offset1:100
	;; [unrolled: 1-line block ×11, first 2 shown]
	s_waitcnt lgkmcnt(0)
	; wave barrier
	s_waitcnt lgkmcnt(0)
	ds_write2_b64 v92, v[108:109], v[14:15] offset1:17
	ds_write_b64 v92, v[6:7] offset:272
	ds_write2_b64 v80, v[114:115], v[118:119] offset1:17
	ds_write_b64 v80, v[60:61] offset:272
	;; [unrolled: 2-line block ×9, first 2 shown]
	v_lshl_add_u64 v[4:5], v[106:107], 4, s[4:5]
	s_waitcnt lgkmcnt(0)
	; wave barrier
	s_waitcnt lgkmcnt(0)
	global_load_dwordx4 v[72:75], v[4:5], off offset:544
	global_load_dwordx4 v[68:71], v[4:5], off offset:560
	;; [unrolled: 1-line block ×8, first 2 shown]
	s_movk_i32 s8, 0xa1
	v_mul_lo_u16_sdwa v84, v140, s8 dst_sel:DWORD dst_unused:UNUSED_PAD src0_sel:BYTE_0 src1_sel:DWORD
	v_lshrrev_b16_e32 v84, 13, v84
	v_mul_lo_u16_e32 v84, 51, v84
	v_sub_u16_e32 v84, v140, v84
	v_and_b32_e32 v100, 0xff, v84
	v_lshlrev_b32_e32 v84, 7, v100
	ds_read2_b64 v[12:15], v122 offset1:51
	ds_read2_b64 v[4:7], v122 offset0:102 offset1:153
	ds_read_b64 v[82:83], v124
	ds_read2_b64 v[78:81], v132 offset0:203 offset1:254
	ds_read2_b64 v[142:145], v134 offset0:49 offset1:100
	global_load_dwordx4 v[146:149], v84, s[4:5] offset:560
	global_load_dwordx4 v[150:153], v84, s[4:5] offset:544
	ds_read2_b64 v[154:157], v93 offset0:125 offset1:176
	ds_read2_b64 v[158:161], v131 offset0:99 offset1:150
	;; [unrolled: 1-line block ×6, first 2 shown]
	global_load_dwordx4 v[178:181], v84, s[4:5] offset:592
	global_load_dwordx4 v[182:185], v84, s[4:5] offset:576
	ds_read2_b64 v[186:189], v134 offset0:151 offset1:202
	ds_read2_b64 v[190:193], v131 offset0:201 offset1:252
	;; [unrolled: 1-line block ×3, first 2 shown]
	global_load_dwordx4 v[198:201], v84, s[4:5] offset:624
	global_load_dwordx4 v[202:205], v84, s[4:5] offset:608
	;; [unrolled: 1-line block ×4, first 2 shown]
	s_mov_b32 s8, 0x8c811c17
	s_mov_b32 s9, 0x3fef838b
	;; [unrolled: 1-line block ×4, first 2 shown]
	s_waitcnt lgkmcnt(0)
	; wave barrier
	s_waitcnt vmcnt(15) lgkmcnt(0)
	v_mul_f64 v[120:121], v[6:7], v[74:75]
	v_fmac_f64_e32 v[120:121], v[2:3], v[72:73]
	v_mul_f64 v[2:3], v[2:3], v[74:75]
	v_fma_f64 v[214:215], v[6:7], v[72:73], -v[2:3]
	s_waitcnt vmcnt(14)
	v_mul_f64 v[216:217], v[82:83], v[70:71]
	v_mul_f64 v[2:3], v[76:77], v[70:71]
	v_fmac_f64_e32 v[216:217], v[76:77], v[68:69]
	v_fma_f64 v[76:77], v[82:83], v[68:69], -v[2:3]
	s_waitcnt vmcnt(13)
	v_mul_f64 v[2:3], v[56:57], v[66:67]
	v_fma_f64 v[220:221], v[78:79], v[64:65], -v[2:3]
	s_waitcnt vmcnt(12)
	v_mul_f64 v[2:3], v[34:35], v[62:63]
	v_fma_f64 v[82:83], v[144:145], v[60:61], -v[2:3]
	s_waitcnt vmcnt(11)
	v_mul_f64 v[2:3], v[52:53], v[104:105]
	v_fma_f64 v[98:99], v[154:155], v[102:103], -v[2:3]
	s_waitcnt vmcnt(10)
	v_mul_f64 v[2:3], v[26:27], v[110:111]
	v_mul_f64 v[96:97], v[154:155], v[104:105]
	v_fma_f64 v[154:155], v[160:161], v[108:109], -v[2:3]
	s_waitcnt vmcnt(9)
	v_mul_f64 v[2:3], v[48:49], v[114:115]
	v_mul_f64 v[218:219], v[78:79], v[66:67]
	;; [unrolled: 1-line block ×5, first 2 shown]
	v_fma_f64 v[162:163], v[162:163], v[112:113], -v[2:3]
	s_waitcnt vmcnt(8)
	v_mul_f64 v[2:3], v[18:19], v[118:119]
	v_mul_f64 v[222:223], v[168:169], v[118:119]
	v_fma_f64 v[168:169], v[168:169], v[116:117], -v[2:3]
	v_mul_f64 v[2:3], v[44:45], v[74:75]
	v_fma_f64 v[86:87], v[170:171], v[72:73], -v[2:3]
	;; [unrolled: 2-line block ×3, first 2 shown]
	v_mul_f64 v[2:3], v[58:59], v[66:67]
	v_mul_f64 v[92:93], v[80:81], v[66:67]
	v_fma_f64 v[94:95], v[80:81], v[64:65], -v[2:3]
	v_mul_f64 v[2:3], v[36:37], v[62:63]
	v_fmac_f64_e32 v[218:219], v[56:57], v[64:65]
	v_fmac_f64_e32 v[92:93], v[58:59], v[64:65]
	v_fma_f64 v[56:57], v[186:187], v[60:61], -v[2:3]
	v_mul_f64 v[58:59], v[156:157], v[104:105]
	v_mul_f64 v[2:3], v[54:55], v[104:105]
	v_fmac_f64_e32 v[58:59], v[54:55], v[102:103]
	v_fma_f64 v[54:55], v[156:157], v[102:103], -v[2:3]
	v_mul_f64 v[2:3], v[28:29], v[110:111]
	v_fma_f64 v[104:105], v[190:191], v[108:109], -v[2:3]
	v_mul_f64 v[2:3], v[50:51], v[114:115]
	v_fmac_f64_e32 v[96:97], v[52:53], v[102:103]
	v_mul_f64 v[102:103], v[190:191], v[110:111]
	v_fma_f64 v[110:111], v[164:165], v[112:113], -v[2:3]
	v_mul_f64 v[2:3], v[20:21], v[118:119]
	v_fmac_f64_e32 v[144:145], v[26:27], v[108:109]
	v_fmac_f64_e32 v[102:103], v[28:29], v[108:109]
	v_mul_f64 v[108:109], v[164:165], v[114:115]
	v_fma_f64 v[114:115], v[194:195], v[116:117], -v[2:3]
	s_waitcnt vmcnt(6)
	v_mul_f64 v[2:3], v[46:47], v[152:153]
	v_fmac_f64_e32 v[160:161], v[48:49], v[112:113]
	v_fmac_f64_e32 v[222:223], v[18:19], v[116:117]
	v_mul_f64 v[52:53], v[186:187], v[62:63]
	v_fmac_f64_e32 v[108:109], v[50:51], v[112:113]
	v_mul_f64 v[112:113], v[194:195], v[118:119]
	v_mul_f64 v[26:27], v[172:173], v[152:153]
	v_fma_f64 v[28:29], v[172:173], v[150:151], -v[2:3]
	v_mul_f64 v[2:3], v[42:43], v[148:149]
	s_waitcnt vmcnt(2)
	v_mul_f64 v[18:19], v[158:159], v[204:205]
	v_fmac_f64_e32 v[78:79], v[34:35], v[60:61]
	v_mul_f64 v[88:89], v[174:175], v[70:71]
	v_fmac_f64_e32 v[52:53], v[36:37], v[60:61]
	v_fmac_f64_e32 v[112:113], v[20:21], v[116:117]
	;; [unrolled: 1-line block ×3, first 2 shown]
	v_fma_f64 v[46:47], v[176:177], v[146:147], -v[2:3]
	v_mul_f64 v[48:49], v[142:143], v[184:185]
	v_mul_f64 v[2:3], v[32:33], v[184:185]
	v_fmac_f64_e32 v[18:19], v[24:25], v[202:203]
	v_mul_f64 v[20:21], v[24:25], v[204:205]
	v_mul_f64 v[62:63], v[192:193], v[200:201]
	;; [unrolled: 1-line block ×3, first 2 shown]
	v_add_f64 v[116:117], v[214:215], v[168:169]
	v_add_f64 v[60:61], v[120:121], -v[222:223]
	v_fmac_f64_e32 v[88:89], v[40:41], v[68:69]
	v_mul_f64 v[34:35], v[176:177], v[148:149]
	v_fmac_f64_e32 v[48:49], v[32:33], v[182:183]
	v_fma_f64 v[32:33], v[142:143], v[182:183], -v[2:3]
	v_fmac_f64_e32 v[62:63], v[30:31], v[198:199]
	v_fma_f64 v[64:65], v[192:193], v[198:199], -v[24:25]
	s_waitcnt vmcnt(0)
	v_mul_f64 v[68:69], v[166:167], v[212:213]
	v_add_f64 v[142:143], v[76:77], v[162:163]
	v_add_f64 v[150:151], v[216:217], -v[160:161]
	v_mul_f64 v[24:25], v[60:61], s[24:25]
	v_fma_f64 v[30:31], s[12:13], v[116:117], v[12:13]
	v_mul_f64 v[84:85], v[170:171], v[74:75]
	v_fmac_f64_e32 v[34:35], v[42:43], v[146:147]
	v_fmac_f64_e32 v[68:69], v[16:17], v[210:211]
	v_mul_f64 v[16:17], v[16:17], v[212:213]
	v_add_f64 v[146:147], v[218:219], v[144:145]
	v_add_f64 v[148:149], v[220:221], v[154:155]
	v_add_f64 v[144:145], v[218:219], -v[144:145]
	v_fmac_f64_e32 v[24:25], s[8:9], v[150:151]
	v_fmac_f64_e32 v[30:31], s[16:17], v[142:143]
	;; [unrolled: 1-line block ×3, first 2 shown]
	v_fma_f64 v[70:71], v[166:167], v[210:211], -v[16:17]
	v_mul_f64 v[16:17], v[22:23], v[208:209]
	v_add_f64 v[72:73], v[120:121], v[222:223]
	v_add_f64 v[120:121], v[214:215], -v[168:169]
	v_add_f64 v[152:153], v[76:77], -v[162:163]
	v_fmac_f64_e32 v[24:25], s[10:11], v[144:145]
	v_add_f64 v[156:157], v[78:79], -v[96:97]
	v_fmac_f64_e32 v[30:31], -0.5, v[148:149]
	v_add_f64 v[162:163], v[82:83], v[98:99]
	v_mul_f64 v[2:3], v[188:189], v[180:181]
	v_fma_f64 v[20:21], v[158:159], v[202:203], -v[20:21]
	v_fma_f64 v[80:81], v[196:197], v[206:207], -v[16:17]
	v_mul_f64 v[16:17], v[120:121], s[24:25]
	v_add_f64 v[158:159], v[82:83], -v[98:99]
	v_fmac_f64_e32 v[24:25], s[14:15], v[156:157]
	v_fmac_f64_e32 v[30:31], s[18:19], v[162:163]
	;; [unrolled: 1-line block ×3, first 2 shown]
	v_mul_f64 v[6:7], v[38:39], v[180:181]
	v_add_f64 v[154:155], v[220:221], -v[154:155]
	v_fmac_f64_e32 v[16:17], s[8:9], v[152:153]
	v_add_f64 v[38:39], v[24:25], v[30:31]
	v_mul_f64 v[42:43], v[156:157], s[20:21]
	v_mul_f64 v[30:31], v[158:159], s[20:21]
	v_fmac_f64_e32 v[16:17], s[10:11], v[154:155]
	v_fmac_f64_e32 v[42:43], s[8:9], v[60:61]
	;; [unrolled: 1-line block ×6, first 2 shown]
	v_add_f64 v[44:45], v[156:157], v[60:61]
	v_add_f64 v[50:51], v[158:159], v[120:121]
	v_mul_f64 v[156:157], v[156:157], s[8:9]
	v_mul_f64 v[158:159], v[158:159], s[8:9]
	v_add_f64 v[118:119], v[216:217], v[160:161]
	v_fmac_f64_e32 v[42:43], s[14:15], v[150:151]
	v_fmac_f64_e32 v[30:31], s[14:15], v[152:153]
	v_add_f64 v[76:77], v[44:45], -v[150:151]
	v_add_f64 v[50:51], v[50:51], -v[152:153]
	v_fma_f64 v[150:151], v[150:151], s[20:21], -v[156:157]
	v_fma_f64 v[152:153], v[152:153], s[20:21], -v[158:159]
	v_add_f64 v[168:169], v[118:119], v[72:73]
	v_add_f64 v[170:171], v[142:143], v[116:117]
	v_fmac_f64_e32 v[150:151], s[10:11], v[144:145]
	v_fmac_f64_e32 v[152:153], s[10:11], v[154:155]
	;; [unrolled: 1-line block ×4, first 2 shown]
	v_add_f64 v[60:61], v[146:147], v[168:169]
	v_add_f64 v[120:121], v[148:149], v[170:171]
	;; [unrolled: 1-line block ×7, first 2 shown]
	v_fma_f64 v[36:37], -2.0, v[24:25], v[38:39]
	v_fma_f64 v[24:25], s[12:13], v[160:161], v[8:9]
	v_fma_f64 v[40:41], s[12:13], v[162:163], v[12:13]
	v_add_f64 v[44:45], v[12:13], v[148:149]
	v_add_f64 v[82:83], v[8:9], v[60:61]
	;; [unrolled: 1-line block ×3, first 2 shown]
	v_fma_f64 v[12:13], s[12:13], v[142:143], v[12:13]
	v_mul_f64 v[74:75], v[196:197], v[208:209]
	v_fmac_f64_e32 v[24:25], s[16:17], v[72:73]
	v_fmac_f64_e32 v[12:13], s[16:17], v[162:163]
	;; [unrolled: 1-line block ×3, first 2 shown]
	v_fma_f64 v[22:23], s[12:13], v[72:73], v[8:9]
	v_fmac_f64_e32 v[40:41], s[16:17], v[116:117]
	v_fmac_f64_e32 v[24:25], -0.5, v[146:147]
	v_fmac_f64_e32 v[12:13], -0.5, v[148:149]
	v_add_f64 v[96:97], v[84:85], v[112:113]
	v_add_f64 v[98:99], v[86:87], v[114:115]
	v_add_f64 v[112:113], v[84:85], -v[112:113]
	v_add_f64 v[114:115], v[86:87], -v[114:115]
	v_fmac_f64_e32 v[22:23], s[16:17], v[118:119]
	v_fmac_f64_e32 v[40:41], -0.5, v[148:149]
	v_fmac_f64_e32 v[24:25], s[18:19], v[118:119]
	v_add_f64 v[66:67], v[8:9], v[146:147]
	v_fma_f64 v[8:9], s[12:13], v[118:119], v[8:9]
	v_fmac_f64_e32 v[12:13], s[18:19], v[116:117]
	v_add_f64 v[116:117], v[88:89], v[108:109]
	v_add_f64 v[118:119], v[90:91], v[110:111]
	;; [unrolled: 1-line block ×3, first 2 shown]
	v_add_f64 v[88:89], v[88:89], -v[108:109]
	v_add_f64 v[90:91], v[90:91], -v[110:111]
	;; [unrolled: 1-line block ×3, first 2 shown]
	v_mul_f64 v[84:85], v[112:113], s[24:25]
	v_mul_f64 v[102:103], v[114:115], s[24:25]
	v_fma_f64 v[86:87], s[12:13], v[96:97], v[10:11]
	v_fma_f64 v[110:111], s[12:13], v[98:99], v[14:15]
	v_fmac_f64_e32 v[40:41], s[18:19], v[142:143]
	v_fmac_f64_e32 v[8:9], s[16:17], v[160:161]
	v_add_f64 v[142:143], v[94:95], v[104:105]
	v_add_f64 v[94:95], v[94:95], -v[104:105]
	v_fmac_f64_e32 v[84:85], s[8:9], v[88:89]
	v_fmac_f64_e32 v[102:103], s[8:9], v[90:91]
	;; [unrolled: 1-line block ×4, first 2 shown]
	v_fmac_f64_e32 v[22:23], -0.5, v[146:147]
	v_fmac_f64_e32 v[8:9], -0.5, v[146:147]
	v_fmac_f64_e32 v[84:85], s[10:11], v[92:93]
	v_fmac_f64_e32 v[102:103], s[10:11], v[94:95]
	v_add_f64 v[104:105], v[52:53], -v[58:59]
	v_add_f64 v[108:109], v[56:57], -v[54:55]
	v_fmac_f64_e32 v[86:87], -0.5, v[120:121]
	v_fmac_f64_e32 v[110:111], -0.5, v[142:143]
	v_add_f64 v[144:145], v[52:53], v[58:59]
	v_add_f64 v[146:147], v[56:57], v[54:55]
	v_fmac_f64_e32 v[84:85], s[14:15], v[104:105]
	v_fmac_f64_e32 v[102:103], s[14:15], v[108:109]
	;; [unrolled: 1-line block ×5, first 2 shown]
	v_add_f64 v[72:73], v[150:151], v[12:13]
	v_add_f64 v[148:149], v[86:87], -v[102:103]
	v_add_f64 v[86:87], v[84:85], v[110:111]
	v_mul_f64 v[110:111], v[104:105], s[20:21]
	v_fma_f64 v[78:79], -2.0, v[150:151], v[72:73]
	v_mul_f64 v[150:151], v[108:109], s[20:21]
	v_fmac_f64_e32 v[110:111], s[8:9], v[112:113]
	v_fmac_f64_e32 v[150:151], s[8:9], v[114:115]
	;; [unrolled: 1-line block ×3, first 2 shown]
	v_add_f64 v[156:157], v[104:105], v[112:113]
	v_mul_f64 v[104:105], v[104:105], s[8:9]
	v_add_f64 v[172:173], v[160:161], v[168:169]
	v_fmac_f64_e32 v[150:151], s[22:23], v[94:95]
	v_fmac_f64_e32 v[110:111], s[14:15], v[88:89]
	v_add_f64 v[158:159], v[108:109], v[114:115]
	v_add_f64 v[156:157], v[156:157], -v[88:89]
	v_add_f64 v[168:169], v[116:117], v[96:97]
	v_mul_f64 v[108:109], v[108:109], s[8:9]
	v_fma_f64 v[88:89], v[88:89], s[20:21], -v[104:105]
	v_add_f64 v[174:175], v[162:163], v[170:171]
	v_fmac_f64_e32 v[150:151], s[14:15], v[90:91]
	v_add_f64 v[158:159], v[158:159], -v[90:91]
	v_add_f64 v[170:171], v[118:119], v[98:99]
	v_fma_f64 v[90:91], v[90:91], s[20:21], -v[108:109]
	v_fmac_f64_e32 v[88:89], s[10:11], v[92:93]
	v_add_f64 v[92:93], v[120:121], v[168:169]
	v_fmac_f64_e32 v[44:45], -0.5, v[174:175]
	v_fmac_f64_e32 v[90:91], s[10:11], v[94:95]
	v_add_f64 v[94:95], v[142:143], v[170:171]
	v_add_f64 v[52:53], v[52:53], v[92:93]
	v_mul_f64 v[164:165], v[76:77], s[10:11]
	v_fmac_f64_e32 v[66:67], -0.5, v[172:173]
	v_fmac_f64_e32 v[44:45], s[10:11], v[76:77]
	v_add_f64 v[8:9], v[8:9], -v[152:153]
	v_add_f64 v[56:57], v[56:57], v[94:95]
	v_add_f64 v[52:53], v[58:59], v[52:53]
	v_mul_f64 v[166:167], v[50:51], s[10:11]
	v_fmac_f64_e32 v[66:67], s[22:23], v[50:51]
	v_fma_f64 v[50:51], -2.0, v[164:165], v[44:45]
	v_fma_f64 v[12:13], 2.0, v[152:153], v[8:9]
	v_fma_f64 v[152:153], s[12:13], v[144:145], v[10:11]
	v_add_f64 v[164:165], v[10:11], v[120:121]
	v_add_f64 v[54:55], v[54:55], v[56:57]
	;; [unrolled: 1-line block ×3, first 2 shown]
	v_fmac_f64_e32 v[10:11], s[12:13], v[116:117]
	v_fma_f64 v[76:77], 2.0, v[166:167], v[66:67]
	v_fma_f64 v[154:155], s[12:13], v[146:147], v[14:15]
	v_add_f64 v[166:167], v[14:15], v[142:143]
	v_add_f64 v[58:59], v[14:15], v[54:55]
	v_fmac_f64_e32 v[14:15], s[12:13], v[118:119]
	v_fmac_f64_e32 v[10:11], s[16:17], v[144:145]
	;; [unrolled: 1-line block ×3, first 2 shown]
	v_fmac_f64_e32 v[10:11], -0.5, v[120:121]
	v_fmac_f64_e32 v[90:91], s[14:15], v[114:115]
	v_fmac_f64_e32 v[14:15], -0.5, v[142:143]
	v_fmac_f64_e32 v[10:11], s[18:19], v[96:97]
	v_fmac_f64_e32 v[88:89], s[14:15], v[112:113]
	v_fmac_f64_e32 v[14:15], s[18:19], v[98:99]
	v_add_f64 v[10:11], v[10:11], -v[90:91]
	v_add_f64 v[54:55], v[26:27], v[74:75]
	v_add_f64 v[56:57], v[28:29], v[80:81]
	v_add_f64 v[26:27], v[26:27], -v[74:75]
	v_fmac_f64_e32 v[152:153], s[16:17], v[96:97]
	v_add_f64 v[92:93], v[88:89], v[14:15]
	v_fma_f64 v[14:15], 2.0, v[90:91], v[10:11]
	v_add_f64 v[90:91], v[34:35], v[68:69]
	v_add_f64 v[94:95], v[46:47], v[70:71]
	;; [unrolled: 1-line block ×3, first 2 shown]
	v_add_f64 v[28:29], v[28:29], -v[80:81]
	v_add_f64 v[34:35], v[34:35], -v[68:69]
	;; [unrolled: 1-line block ×3, first 2 shown]
	v_mul_f64 v[62:63], v[26:27], s[24:25]
	v_fma_f64 v[80:81], s[12:13], v[56:57], v[4:5]
	v_fma_f64 v[6:7], v[188:189], v[178:179], -v[6:7]
	v_fmac_f64_e32 v[154:155], s[16:17], v[98:99]
	v_add_f64 v[98:99], v[32:33], v[64:65]
	v_fmac_f64_e32 v[62:63], s[8:9], v[34:35]
	v_fmac_f64_e32 v[80:81], s[16:17], v[94:95]
	;; [unrolled: 1-line block ×3, first 2 shown]
	v_add_f64 v[68:69], v[2:3], -v[18:19]
	v_fmac_f64_e32 v[80:81], -0.5, v[98:99]
	v_add_f64 v[108:109], v[6:7], v[20:21]
	v_fmac_f64_e32 v[62:63], s[14:15], v[68:69]
	v_fmac_f64_e32 v[80:81], s[18:19], v[108:109]
	v_fmac_f64_e32 v[154:155], -0.5, v[142:143]
	v_add_f64 v[80:81], v[62:63], v[80:81]
	v_fmac_f64_e32 v[154:155], s[18:19], v[118:119]
	v_fma_f64 v[112:113], -2.0, v[62:63], v[80:81]
	v_mul_f64 v[62:63], v[68:69], s[20:21]
	v_fma_f64 v[118:119], s[12:13], v[108:109], v[4:5]
	v_fmac_f64_e32 v[62:63], s[8:9], v[26:27]
	v_fmac_f64_e32 v[118:119], s[16:17], v[56:57]
	;; [unrolled: 1-line block ×3, first 2 shown]
	v_fmac_f64_e32 v[118:119], -0.5, v[98:99]
	v_add_f64 v[46:47], v[46:47], -v[70:71]
	v_add_f64 v[32:33], v[32:33], -v[64:65]
	v_mul_f64 v[64:65], v[28:29], s[24:25]
	v_add_f64 v[70:71], v[6:7], -v[20:21]
	v_fmac_f64_e32 v[62:63], s[14:15], v[34:35]
	v_fmac_f64_e32 v[118:119], s[18:19], v[94:95]
	;; [unrolled: 1-line block ×3, first 2 shown]
	v_mul_f64 v[114:115], v[70:71], s[20:21]
	v_add_f64 v[118:119], v[62:63], v[118:119]
	v_fmac_f64_e32 v[152:153], -0.5, v[120:121]
	v_fmac_f64_e32 v[64:65], s[10:11], v[32:33]
	v_fmac_f64_e32 v[114:115], s[8:9], v[28:29]
	v_fma_f64 v[120:121], -2.0, v[62:63], v[118:119]
	v_add_f64 v[62:63], v[68:69], v[26:27]
	v_mul_f64 v[68:69], v[68:69], s[8:9]
	v_fmac_f64_e32 v[64:65], s[14:15], v[70:71]
	v_fmac_f64_e32 v[114:115], s[22:23], v[32:33]
	v_add_f64 v[142:143], v[70:71], v[28:29]
	v_add_f64 v[62:63], v[62:63], -v[34:35]
	v_mul_f64 v[70:71], v[70:71], s[8:9]
	v_fma_f64 v[34:35], v[34:35], s[20:21], -v[68:69]
	v_add_f64 v[172:173], v[144:145], v[168:169]
	v_fmac_f64_e32 v[114:115], s[14:15], v[46:47]
	v_add_f64 v[142:143], v[142:143], -v[46:47]
	v_add_f64 v[168:169], v[90:91], v[54:55]
	v_fma_f64 v[46:47], v[46:47], s[20:21], -v[70:71]
	v_fmac_f64_e32 v[34:35], s[10:11], v[48:49]
	v_add_f64 v[174:175], v[146:147], v[170:171]
	v_add_f64 v[170:171], v[94:95], v[56:57]
	v_fmac_f64_e32 v[46:47], s[10:11], v[32:33]
	v_fmac_f64_e32 v[34:35], s[14:15], v[26:27]
	v_add_f64 v[26:27], v[96:97], v[168:169]
	v_fmac_f64_e32 v[166:167], -0.5, v[174:175]
	v_add_f64 v[104:105], v[2:3], v[18:19]
	v_fmac_f64_e32 v[46:47], s[14:15], v[28:29]
	v_add_f64 v[28:29], v[98:99], v[170:171]
	v_add_f64 v[2:3], v[2:3], v[26:27]
	v_fmac_f64_e32 v[22:23], s[18:19], v[160:161]
	v_mul_f64 v[160:161], v[156:157], s[10:11]
	v_fmac_f64_e32 v[164:165], -0.5, v[172:173]
	v_fmac_f64_e32 v[166:167], s[10:11], v[156:157]
	v_add_f64 v[6:7], v[6:7], v[28:29]
	v_add_f64 v[2:3], v[18:19], v[2:3]
	v_fmac_f64_e32 v[152:153], s[18:19], v[116:117]
	v_mul_f64 v[162:163], v[158:159], s[10:11]
	v_fmac_f64_e32 v[164:165], s[22:23], v[158:159]
	v_fma_f64 v[158:159], -2.0, v[160:161], v[166:167]
	v_fma_f64 v[74:75], s[12:13], v[54:55], v[0:1]
	v_fma_f64 v[116:117], s[12:13], v[104:105], v[0:1]
	v_add_f64 v[160:161], v[0:1], v[96:97]
	v_add_f64 v[6:7], v[20:21], v[6:7]
	;; [unrolled: 1-line block ×3, first 2 shown]
	v_fmac_f64_e32 v[0:1], s[12:13], v[90:91]
	v_fma_f64 v[156:157], 2.0, v[162:163], v[164:165]
	v_fmac_f64_e32 v[74:75], s[16:17], v[90:91]
	v_add_f64 v[162:163], v[4:5], v[98:99]
	v_add_f64 v[48:49], v[4:5], v[6:7]
	v_fmac_f64_e32 v[4:5], s[12:13], v[94:95]
	v_fmac_f64_e32 v[0:1], s[16:17], v[104:105]
	v_fmac_f64_e32 v[74:75], -0.5, v[96:97]
	v_fmac_f64_e32 v[116:117], s[16:17], v[54:55]
	v_add_f64 v[172:173], v[104:105], v[168:169]
	v_fmac_f64_e32 v[4:5], s[16:17], v[108:109]
	v_fmac_f64_e32 v[0:1], -0.5, v[96:97]
	v_add_f64 v[22:23], v[22:23], -v[16:17]
	v_add_f64 v[24:25], v[24:25], -v[30:31]
	;; [unrolled: 1-line block ×3, first 2 shown]
	v_fmac_f64_e32 v[74:75], s[18:19], v[104:105]
	v_fmac_f64_e32 v[116:117], -0.5, v[96:97]
	v_add_f64 v[174:175], v[108:109], v[170:171]
	v_fmac_f64_e32 v[160:161], -0.5, v[172:173]
	v_fmac_f64_e32 v[4:5], -0.5, v[98:99]
	v_fmac_f64_e32 v[0:1], s[18:19], v[54:55]
	v_fma_f64 v[16:17], 2.0, v[16:17], v[22:23]
	v_fma_f64 v[30:31], 2.0, v[30:31], v[24:25]
	v_fma_f64 v[102:103], 2.0, v[102:103], v[148:149]
	v_fma_f64 v[150:151], 2.0, v[150:151], v[152:153]
	v_add_f64 v[74:75], v[74:75], -v[64:65]
	v_fmac_f64_e32 v[116:117], s[18:19], v[90:91]
	v_mul_f64 v[146:147], v[142:143], s[10:11]
	v_fmac_f64_e32 v[162:163], -0.5, v[174:175]
	v_fmac_f64_e32 v[160:161], s[22:23], v[142:143]
	v_fmac_f64_e32 v[4:5], s[18:19], v[56:57]
	v_add_f64 v[0:1], v[0:1], -v[46:47]
	ds_write2_b64 v122, v[82:83], v[22:23] offset1:51
	ds_write2_b64 v122, v[24:25], v[66:67] offset0:102 offset1:153
	ds_write2_b64 v122, v[8:9], v[12:13] offset0:204 offset1:255
	;; [unrolled: 1-line block ×8, first 2 shown]
	v_lshl_add_u32 v66, v100, 3, 0
	v_fma_f64 v[64:65], 2.0, v[64:65], v[74:75]
	v_add_f64 v[116:117], v[116:117], -v[114:115]
	v_mul_f64 v[144:145], v[62:63], s[10:11]
	v_fmac_f64_e32 v[162:163], s[10:11], v[62:63]
	v_fma_f64 v[62:63], 2.0, v[146:147], v[160:161]
	v_add_f64 v[68:69], v[34:35], v[4:5]
	v_fma_f64 v[4:5], 2.0, v[46:47], v[0:1]
	v_add_u32_e32 v67, 0x1800, v66
	v_add_u32_e32 v82, 0x1c00, v66
	;; [unrolled: 1-line block ×3, first 2 shown]
	v_fma_f64 v[114:115], 2.0, v[114:115], v[116:117]
	v_fma_f64 v[90:91], -2.0, v[34:35], v[68:69]
	ds_write2_b64 v67, v[2:3], v[74:75] offset0:150 offset1:201
	ds_write2_b64 v82, v[116:117], v[160:161] offset0:124 offset1:175
	;; [unrolled: 1-line block ×4, first 2 shown]
	ds_write_b64 v66, v[64:65] offset:10608
	s_waitcnt lgkmcnt(0)
	; wave barrier
	s_waitcnt lgkmcnt(0)
	ds_read2_b64 v[0:3], v122 offset1:51
	ds_read2_b64 v[8:11], v132 offset0:152 offset1:203
	ds_read2_b64 v[4:7], v131 offset0:150 offset1:201
	;; [unrolled: 1-line block ×10, first 2 shown]
	ds_read_b64 v[56:57], v125
	ds_read2_b64 v[32:35], v131 offset0:48 offset1:99
	ds_read_b64 v[70:71], v124
	ds_read_b64 v[46:47], v122 offset:10608
	v_add_f64 v[40:41], v[42:43], v[40:41]
	v_add_f64 v[154:155], v[110:111], v[154:155]
	v_fma_f64 v[42:43], -2.0, v[42:43], v[40:41]
	v_fma_f64 v[84:85], -2.0, v[84:85], v[86:87]
	;; [unrolled: 1-line block ×5, first 2 shown]
	s_waitcnt lgkmcnt(0)
	; wave barrier
	s_waitcnt lgkmcnt(0)
	ds_write2_b64 v122, v[60:61], v[38:39] offset1:51
	ds_write2_b64 v122, v[40:41], v[44:45] offset0:102 offset1:153
	ds_write2_b64 v122, v[72:73], v[78:79] offset0:204 offset1:255
	;; [unrolled: 1-line block ×12, first 2 shown]
	ds_write_b64 v66, v[112:113] offset:10608
	s_waitcnt lgkmcnt(0)
	; wave barrier
	s_waitcnt lgkmcnt(0)
	s_and_saveexec_b64 s[8:9], s[0:1]
	s_cbranch_execz .LBB0_19
; %bb.18:
	v_lshlrev_b32_e32 v106, 1, v129
	v_lshl_add_u64 v[36:37], v[106:107], 4, s[4:5]
	s_mov_b64 s[0:1], 0x1ba0
	v_add_co_u32_e32 v48, vcc, 0x1000, v36
	v_lshl_add_u64 v[44:45], v[36:37], 0, s[0:1]
	s_nop 0
	v_addc_co_u32_e32 v49, vcc, 0, v37, vcc
	v_lshlrev_b32_e32 v106, 1, v130
	s_movk_i32 s8, 0x1000
	global_load_dwordx4 v[36:39], v[48:49], off offset:2976
	global_load_dwordx4 v[40:43], v[44:45], off offset:16
	v_lshl_add_u64 v[44:45], v[106:107], 4, s[4:5]
	v_lshl_add_u64 v[58:59], v[44:45], 0, s[0:1]
	v_add_co_u32_e32 v44, vcc, s8, v44
	v_lshlrev_b32_e32 v106, 1, v126
	s_nop 0
	v_addc_co_u32_e32 v45, vcc, 0, v45, vcc
	global_load_dwordx4 v[48:51], v[44:45], off offset:2976
	global_load_dwordx4 v[66:69], v[58:59], off offset:16
	v_lshl_add_u64 v[44:45], v[106:107], 4, s[4:5]
	v_add_co_u32_e32 v58, vcc, s8, v44
	v_lshlrev_b32_e32 v106, 1, v128
	s_nop 0
	v_addc_co_u32_e32 v59, vcc, 0, v45, vcc
	v_lshl_add_u64 v[44:45], v[44:45], 0, s[0:1]
	global_load_dwordx4 v[78:81], v[58:59], off offset:2976
	global_load_dwordx4 v[82:85], v[44:45], off offset:16
	v_lshl_add_u64 v[90:91], v[106:107], 4, s[4:5]
	v_lshl_add_u64 v[92:93], v[90:91], 0, s[0:1]
	v_add_co_u32_e32 v90, vcc, s8, v90
	v_add_u32_e32 v58, 0x800, v122
	s_nop 0
	v_addc_co_u32_e32 v91, vcc, 0, v91, vcc
	v_add_u32_e32 v108, 0x1800, v122
	ds_read_b64 v[44:45], v122 offset:10608
	v_add_u32_e32 v109, 0x2000, v122
	ds_read_b64 v[72:73], v125
	ds_read_b64 v[102:103], v124
	ds_read2_b64 v[58:61], v58 offset0:152 offset1:203
	ds_read2_b64 v[86:89], v108 offset0:48 offset1:99
	;; [unrolled: 1-line block ×3, first 2 shown]
	global_load_dwordx4 v[110:113], v[90:91], off offset:2976
	global_load_dwordx4 v[114:117], v[92:93], off offset:16
	v_lshlrev_b32_e32 v106, 1, v127
	v_lshl_add_u64 v[94:95], v[106:107], 4, s[4:5]
	v_add_u32_e32 v124, 0x1000, v122
	v_lshlrev_b32_e32 v106, 1, v141
	v_mov_b32_e32 v139, v107
	s_movk_i32 s9, 0x2000
	s_waitcnt vmcnt(7)
	v_mul_f64 v[90:91], v[34:35], v[38:39]
	s_waitcnt lgkmcnt(1)
	v_mul_f64 v[38:39], v[88:89], v[38:39]
	s_waitcnt vmcnt(6)
	v_mul_f64 v[96:97], v[44:45], v[42:43]
	v_fmac_f64_e32 v[38:39], v[34:35], v[36:37]
	v_fmac_f64_e32 v[96:97], v[46:47], v[40:41]
	v_mul_f64 v[92:93], v[46:47], v[42:43]
	v_fma_f64 v[44:45], v[40:41], v[44:45], -v[92:93]
	v_add_f64 v[40:41], v[8:9], v[38:39]
	s_waitcnt vmcnt(5)
	v_mul_f64 v[42:43], v[32:33], v[50:51]
	v_mul_f64 v[118:119], v[86:87], v[50:51]
	v_fma_f64 v[50:51], v[36:37], v[88:89], -v[90:91]
	v_add_f64 v[36:37], v[38:39], v[96:97]
	v_fma_f64 v[36:37], -0.5, v[36:37], v[8:9]
	v_add_co_u32_e32 v8, vcc, s8, v94
	v_add_f64 v[46:47], v[38:39], -v[96:97]
	s_nop 0
	v_addc_co_u32_e32 v9, vcc, 0, v95, vcc
	global_load_dwordx4 v[90:93], v[8:9], off offset:2976
	v_lshl_add_u64 v[8:9], v[94:95], 0, s[0:1]
	v_add_f64 v[40:41], v[40:41], v[96:97]
	global_load_dwordx4 v[94:97], v[8:9], off offset:16
	s_waitcnt vmcnt(6)
	v_mul_f64 v[104:105], v[64:65], v[68:69]
	s_waitcnt lgkmcnt(0)
	v_mul_f64 v[68:69], v[100:101], v[68:69]
	v_fma_f64 v[86:87], v[48:49], v[86:87], -v[42:43]
	v_fma_f64 v[88:89], v[66:67], v[100:101], -v[104:105]
	v_fmac_f64_e32 v[118:119], v[32:33], v[48:49]
	v_fmac_f64_e32 v[68:69], v[64:65], v[66:67]
	v_add_f64 v[32:33], v[50:51], v[44:45]
	v_add_f64 v[8:9], v[72:73], v[86:87]
	;; [unrolled: 1-line block ×3, first 2 shown]
	v_add_f64 v[48:49], v[50:51], -v[44:45]
	v_fma_f64 v[38:39], -0.5, v[32:33], v[58:59]
	v_add_f64 v[58:59], v[8:9], v[88:89]
	v_add_f64 v[8:9], v[118:119], v[68:69]
	v_add_f64 v[50:51], v[86:87], v[88:89]
	v_fma_f64 v[32:33], s[6:7], v[48:49], v[36:37]
	v_fmac_f64_e32 v[36:37], s[2:3], v[48:49]
	v_fma_f64 v[48:49], -0.5, v[8:9], v[56:57]
	v_add_f64 v[8:9], v[86:87], -v[88:89]
	ds_read2_b64 v[86:89], v124 offset0:202 offset1:253
	v_add_f64 v[64:65], v[118:119], -v[68:69]
	v_add_f64 v[42:43], v[34:35], v[44:45]
	v_fma_f64 v[50:51], -0.5, v[50:51], v[72:73]
	v_fma_f64 v[44:45], s[6:7], v[8:9], v[48:49]
	v_fmac_f64_e32 v[48:49], s[2:3], v[8:9]
	v_add_f64 v[8:9], v[56:57], v[118:119]
	v_fma_f64 v[34:35], s[2:3], v[46:47], v[38:39]
	v_fmac_f64_e32 v[38:39], s[6:7], v[46:47]
	v_fma_f64 v[46:47], s[2:3], v[64:65], v[50:51]
	v_fmac_f64_e32 v[50:51], s[6:7], v[64:65]
	v_add_f64 v[56:57], v[8:9], v[68:69]
	s_waitcnt vmcnt(5)
	v_mul_f64 v[8:9], v[76:77], v[80:81]
	s_waitcnt vmcnt(4)
	v_mul_f64 v[64:65], v[62:63], v[84:85]
	s_waitcnt lgkmcnt(0)
	v_mul_f64 v[80:81], v[88:89], v[80:81]
	v_fma_f64 v[8:9], v[78:79], v[88:89], -v[8:9]
	v_fma_f64 v[66:67], v[82:83], v[98:99], -v[64:65]
	v_fmac_f64_e32 v[80:81], v[76:77], v[78:79]
	v_mul_f64 v[76:77], v[98:99], v[84:85]
	v_add_f64 v[64:65], v[8:9], v[66:67]
	v_fmac_f64_e32 v[76:77], v[62:63], v[82:83]
	v_fma_f64 v[64:65], -0.5, v[64:65], v[102:103]
	v_add_f64 v[62:63], v[80:81], -v[76:77]
	v_fma_f64 v[68:69], s[2:3], v[62:63], v[64:65]
	v_fmac_f64_e32 v[64:65], s[6:7], v[62:63]
	v_add_f64 v[62:63], v[102:103], v[8:9]
	v_add_f64 v[72:73], v[62:63], v[66:67]
	;; [unrolled: 1-line block ×3, first 2 shown]
	v_fma_f64 v[62:63], -0.5, v[62:63], v[70:71]
	v_add_f64 v[8:9], v[8:9], -v[66:67]
	v_fma_f64 v[66:67], s[6:7], v[8:9], v[62:63]
	v_fmac_f64_e32 v[62:63], s[2:3], v[8:9]
	v_add_f64 v[8:9], v[70:71], v[80:81]
	v_add_f64 v[70:71], v[8:9], v[76:77]
	v_lshl_add_u64 v[8:9], v[106:107], 4, s[4:5]
	v_add_co_u32_e32 v76, vcc, s8, v8
	v_lshlrev_b32_e32 v106, 1, v140
	s_nop 0
	v_addc_co_u32_e32 v77, vcc, 0, v9, vcc
	v_lshl_add_u64 v[8:9], v[8:9], 0, s[0:1]
	global_load_dwordx4 v[98:101], v[76:77], off offset:2976
	global_load_dwordx4 v[102:105], v[8:9], off offset:16
	ds_read2_b64 v[118:121], v109 offset0:98 offset1:149
	ds_read2_b64 v[130:133], v122 offset0:204 offset1:255
	s_waitcnt vmcnt(5)
	v_mul_f64 v[8:9], v[74:75], v[112:113]
	s_waitcnt vmcnt(4)
	v_mul_f64 v[76:77], v[54:55], v[116:117]
	v_fma_f64 v[8:9], v[110:111], v[86:87], -v[8:9]
	s_waitcnt lgkmcnt(1)
	v_fma_f64 v[82:83], v[114:115], v[120:121], -v[76:77]
	v_mul_f64 v[86:87], v[86:87], v[112:113]
	v_mul_f64 v[88:89], v[120:121], v[116:117]
	v_add_f64 v[76:77], v[8:9], v[82:83]
	v_fmac_f64_e32 v[86:87], v[74:75], v[110:111]
	v_fmac_f64_e32 v[88:89], v[54:55], v[114:115]
	s_waitcnt lgkmcnt(0)
	v_fma_f64 v[80:81], -0.5, v[76:77], v[132:133]
	v_add_f64 v[54:55], v[86:87], -v[88:89]
	v_fma_f64 v[76:77], s[2:3], v[54:55], v[80:81]
	v_fmac_f64_e32 v[80:81], s[6:7], v[54:55]
	v_lshl_add_u64 v[54:55], v[106:107], 4, s[4:5]
	v_add_co_u32_e32 v74, vcc, s8, v54
	v_lshlrev_b32_e32 v106, 1, v123
	s_nop 0
	v_addc_co_u32_e32 v75, vcc, 0, v55, vcc
	v_lshl_add_u64 v[54:55], v[54:55], 0, s[0:1]
	global_load_dwordx4 v[110:113], v[74:75], off offset:2976
	global_load_dwordx4 v[114:117], v[54:55], off offset:16
	v_add_f64 v[54:55], v[132:133], v[8:9]
	v_add_f64 v[84:85], v[54:55], v[82:83]
	;; [unrolled: 1-line block ×3, first 2 shown]
	ds_read2_b64 v[132:135], v124 offset0:100 offset1:151
	v_fma_f64 v[78:79], -0.5, v[54:55], v[30:31]
	v_add_f64 v[8:9], v[8:9], -v[82:83]
	v_lshl_add_u64 v[54:55], v[106:107], 4, s[4:5]
	v_fma_f64 v[74:75], s[6:7], v[8:9], v[78:79]
	v_fmac_f64_e32 v[78:79], s[2:3], v[8:9]
	v_add_f64 v[8:9], v[30:31], v[86:87]
	v_add_co_u32_e32 v86, vcc, s8, v54
	s_waitcnt vmcnt(5) lgkmcnt(0)
	v_mul_f64 v[124:125], v[134:135], v[92:93]
	v_addc_co_u32_e32 v87, vcc, 0, v55, vcc
	global_load_dwordx4 v[140:143], v[86:87], off offset:2976
	v_lshl_add_u64 v[54:55], v[54:55], 0, s[0:1]
	global_load_dwordx4 v[144:147], v[54:55], off offset:16
	v_add_f64 v[82:83], v[8:9], v[88:89]
	v_mul_f64 v[8:9], v[26:27], v[92:93]
	v_fmac_f64_e32 v[124:125], v[26:27], v[90:91]
	s_waitcnt vmcnt(6)
	v_mul_f64 v[26:27], v[118:119], v[96:97]
	v_fmac_f64_e32 v[26:27], v[52:53], v[94:95]
	v_mul_f64 v[30:31], v[52:53], v[96:97]
	v_add_f64 v[52:53], v[124:125], v[26:27]
	v_lshlrev_b32_e32 v106, 1, v138
	v_fma_f64 v[86:87], -0.5, v[52:53], v[28:29]
	v_lshl_add_u64 v[52:53], v[106:107], 4, s[4:5]
	v_fma_f64 v[8:9], v[90:91], v[134:135], -v[8:9]
	v_add_co_u32_e32 v90, vcc, s8, v52
	v_fma_f64 v[120:121], v[94:95], v[118:119], -v[30:31]
	s_nop 0
	v_addc_co_u32_e32 v91, vcc, 0, v53, vcc
	global_load_dwordx4 v[90:93], v[90:91], off offset:2976
	v_lshl_add_u64 v[52:53], v[52:53], 0, s[0:1]
	global_load_dwordx4 v[94:97], v[52:53], off offset:16
	v_add_f64 v[30:31], v[8:9], v[120:121]
	v_fma_f64 v[88:89], -0.5, v[30:31], v[130:131]
	v_add_f64 v[30:31], v[124:125], -v[26:27]
	v_fma_f64 v[54:55], s[2:3], v[30:31], v[88:89]
	v_fmac_f64_e32 v[88:89], s[6:7], v[30:31]
	v_add_f64 v[30:31], v[130:131], v[8:9]
	v_add_f64 v[8:9], v[8:9], -v[120:121]
	v_fma_f64 v[52:53], s[6:7], v[8:9], v[86:87]
	v_fmac_f64_e32 v[86:87], s[2:3], v[8:9]
	v_add_f64 v[8:9], v[28:29], v[124:125]
	v_add_f64 v[28:29], v[8:9], v[26:27]
	v_add_u32_e32 v8, 0x1c00, v122
	v_add_f64 v[30:31], v[30:31], v[120:121]
	ds_read2_b64 v[118:121], v8 offset0:124 offset1:175
	ds_read2_b64 v[148:151], v122 offset0:102 offset1:153
	s_movk_i32 s0, 0x3000
	s_mov_b32 s1, 0x4763d59d
	s_waitcnt vmcnt(7)
	v_mul_f64 v[8:9], v[24:25], v[100:101]
	s_waitcnt vmcnt(6)
	v_mul_f64 v[26:27], v[22:23], v[104:105]
	v_fma_f64 v[8:9], v[98:99], v[132:133], -v[8:9]
	s_waitcnt lgkmcnt(1)
	v_fma_f64 v[124:125], v[102:103], v[120:121], -v[26:27]
	v_mul_f64 v[134:135], v[132:133], v[100:101]
	v_mul_f64 v[120:121], v[120:121], v[104:105]
	v_add_f64 v[26:27], v[8:9], v[124:125]
	v_fmac_f64_e32 v[134:135], v[24:25], v[98:99]
	v_fmac_f64_e32 v[120:121], v[22:23], v[102:103]
	s_waitcnt lgkmcnt(0)
	v_fma_f64 v[26:27], -0.5, v[26:27], v[150:151]
	v_add_f64 v[22:23], v[134:135], -v[120:121]
	v_fma_f64 v[100:101], s[2:3], v[22:23], v[26:27]
	v_fmac_f64_e32 v[26:27], s[6:7], v[22:23]
	v_add_f64 v[22:23], v[150:151], v[8:9]
	v_add_f64 v[104:105], v[22:23], v[124:125]
	;; [unrolled: 1-line block ×3, first 2 shown]
	v_fma_f64 v[24:25], -0.5, v[22:23], v[18:19]
	v_add_u32_e32 v22, 0xc00, v122
	ds_read2_b64 v[130:133], v22 offset0:126 offset1:177
	v_add_f64 v[8:9], v[8:9], -v[124:125]
	v_fma_f64 v[98:99], s[6:7], v[8:9], v[24:25]
	v_fmac_f64_e32 v[24:25], s[2:3], v[8:9]
	v_add_f64 v[8:9], v[18:19], v[134:135]
	v_add_f64 v[102:103], v[8:9], v[120:121]
	s_waitcnt vmcnt(5)
	v_mul_f64 v[8:9], v[14:15], v[112:113]
	s_waitcnt vmcnt(4)
	v_mul_f64 v[18:19], v[20:21], v[116:117]
	s_waitcnt lgkmcnt(0)
	v_mul_f64 v[124:125], v[132:133], v[112:113]
	v_fma_f64 v[8:9], v[110:111], v[132:133], -v[8:9]
	v_fma_f64 v[120:121], v[114:115], v[118:119], -v[18:19]
	v_fmac_f64_e32 v[124:125], v[14:15], v[110:111]
	v_mul_f64 v[14:15], v[118:119], v[116:117]
	v_add_f64 v[18:19], v[8:9], v[120:121]
	v_fmac_f64_e32 v[14:15], v[20:21], v[114:115]
	v_fma_f64 v[22:23], -0.5, v[18:19], v[148:149]
	v_add_f64 v[18:19], v[124:125], -v[14:15]
	v_fma_f64 v[112:113], s[2:3], v[18:19], v[22:23]
	v_fmac_f64_e32 v[22:23], s[6:7], v[18:19]
	v_add_f64 v[18:19], v[148:149], v[8:9]
	v_add_f64 v[20:21], v[124:125], v[14:15]
	;; [unrolled: 1-line block ×3, first 2 shown]
	v_fma_f64 v[20:21], -0.5, v[20:21], v[16:17]
	v_add_f64 v[8:9], v[8:9], -v[120:121]
	ds_read2_b64 v[114:117], v108 offset0:150 offset1:201
	ds_read2_b64 v[118:121], v122 offset1:51
	v_fma_f64 v[110:111], s[6:7], v[8:9], v[20:21]
	v_fmac_f64_e32 v[20:21], s[2:3], v[8:9]
	v_add_f64 v[8:9], v[16:17], v[124:125]
	v_add_f64 v[16:17], v[8:9], v[14:15]
	s_waitcnt vmcnt(3)
	v_mul_f64 v[8:9], v[12:13], v[142:143]
	v_fma_f64 v[108:109], v[140:141], v[130:131], -v[8:9]
	s_waitcnt vmcnt(2)
	v_mul_f64 v[8:9], v[6:7], v[146:147]
	s_waitcnt lgkmcnt(1)
	v_fma_f64 v[124:125], v[144:145], v[116:117], -v[8:9]
	v_mul_f64 v[130:131], v[130:131], v[142:143]
	v_mul_f64 v[116:117], v[116:117], v[146:147]
	v_add_f64 v[8:9], v[108:109], v[124:125]
	v_fmac_f64_e32 v[130:131], v[12:13], v[140:141]
	v_fmac_f64_e32 v[116:117], v[6:7], v[144:145]
	s_waitcnt lgkmcnt(0)
	v_fma_f64 v[8:9], -0.5, v[8:9], v[120:121]
	v_add_f64 v[6:7], v[130:131], -v[116:117]
	v_fma_f64 v[14:15], s[2:3], v[6:7], v[8:9]
	v_fmac_f64_e32 v[8:9], s[6:7], v[6:7]
	v_add_f64 v[6:7], v[120:121], v[108:109]
	v_add_f64 v[122:123], v[6:7], v[124:125]
	;; [unrolled: 1-line block ×3, first 2 shown]
	v_fma_f64 v[6:7], -0.5, v[6:7], v[2:3]
	v_add_f64 v[2:3], v[2:3], v[130:131]
	v_add_f64 v[108:109], v[108:109], -v[124:125]
	v_add_f64 v[120:121], v[2:3], v[116:117]
	s_waitcnt vmcnt(1)
	v_mul_f64 v[2:3], v[10:11], v[92:93]
	v_fma_f64 v[12:13], s[6:7], v[108:109], v[6:7]
	v_fmac_f64_e32 v[6:7], s[2:3], v[108:109]
	v_fma_f64 v[2:3], v[90:91], v[60:61], -v[2:3]
	s_waitcnt vmcnt(0)
	v_mul_f64 v[108:109], v[4:5], v[96:97]
	v_mul_f64 v[60:61], v[60:61], v[92:93]
	v_fma_f64 v[108:109], v[94:95], v[114:115], -v[108:109]
	v_fmac_f64_e32 v[60:61], v[10:11], v[90:91]
	v_mul_f64 v[10:11], v[114:115], v[96:97]
	v_add_f64 v[116:117], v[2:3], v[108:109]
	v_fmac_f64_e32 v[10:11], v[4:5], v[94:95]
	v_fma_f64 v[116:117], -0.5, v[116:117], v[118:119]
	v_add_f64 v[90:91], v[60:61], -v[10:11]
	v_fma_f64 v[4:5], s[2:3], v[90:91], v[116:117]
	v_fmac_f64_e32 v[116:117], s[6:7], v[90:91]
	v_add_f64 v[90:91], v[118:119], v[2:3]
	v_add_f64 v[92:93], v[90:91], v[108:109]
	v_add_f64 v[90:91], v[60:61], v[10:11]
	v_fma_f64 v[114:115], -0.5, v[90:91], v[0:1]
	v_add_f64 v[90:91], v[2:3], -v[108:109]
	v_add_f64 v[0:1], v[0:1], v[60:61]
	v_fma_f64 v[2:3], s[6:7], v[90:91], v[114:115]
	v_fmac_f64_e32 v[114:115], s[2:3], v[90:91]
	v_add_f64 v[90:91], v[0:1], v[10:11]
	v_lshl_add_u64 v[0:1], v[138:139], 4, v[136:137]
	v_add_co_u32_e32 v10, vcc, s8, v0
	global_store_dwordx4 v[0:1], v[90:93], off
	s_nop 0
	v_addc_co_u32_e32 v11, vcc, 0, v1, vcc
	v_add_co_u32_e32 v60, vcc, s0, v0
	global_store_dwordx4 v[10:11], v[114:117], off offset:3248
	s_nop 0
	v_addc_co_u32_e32 v61, vcc, 0, v1, vcc
	global_store_dwordx4 v[60:61], v[2:5], off offset:2400
	global_store_dwordx4 v[0:1], v[120:123], off offset:816
	;; [unrolled: 1-line block ×5, first 2 shown]
	v_add_co_u32_e32 v2, vcc, s9, v0
	v_mul_hi_u32 v6, v127, s1
	s_nop 0
	v_addc_co_u32_e32 v3, vcc, 0, v1, vcc
	s_movk_i32 s0, 0x4000
	v_lshrrev_b32_e32 v6, 7, v6
	v_add_co_u32_e32 v4, vcc, s0, v0
	v_mul_u32_u24_e32 v106, 0x396, v6
	s_nop 0
	v_addc_co_u32_e32 v5, vcc, 0, v1, vcc
	v_lshl_add_u64 v[6:7], v[106:107], 4, v[0:1]
	v_add_co_u32_e32 v8, vcc, s9, v6
	global_store_dwordx4 v[2:3], v[20:23], off offset:784
	global_store_dwordx4 v[60:61], v[110:113], off offset:4032
	;; [unrolled: 1-line block ×4, first 2 shown]
	v_addc_co_u32_e32 v9, vcc, 0, v7, vcc
	global_store_dwordx4 v[4:5], v[98:101], off offset:752
	global_store_dwordx4 v[6:7], v[28:31], off offset:3264
	v_add_co_u32_e32 v6, vcc, s0, v6
	global_store_dwordx4 v[8:9], v[86:89], off offset:2416
	s_nop 0
	v_addc_co_u32_e32 v7, vcc, 0, v7, vcc
	global_store_dwordx4 v[6:7], v[52:55], off offset:1568
	v_mul_hi_u32 v6, v128, s1
	v_lshrrev_b32_e32 v6, 7, v6
	v_mul_u32_u24_e32 v106, 0x396, v6
	v_lshl_add_u64 v[0:1], v[106:107], 4, v[0:1]
	v_add_co_u32_e32 v6, vcc, s9, v0
	global_store_dwordx4 v[0:1], v[82:85], off offset:4080
	s_nop 0
	v_addc_co_u32_e32 v7, vcc, 0, v1, vcc
	v_add_co_u32_e32 v0, vcc, s0, v0
	global_store_dwordx4 v[6:7], v[78:81], off offset:3232
	s_nop 0
	v_addc_co_u32_e32 v1, vcc, 0, v1, vcc
	global_store_dwordx4 v[0:1], v[74:77], off offset:2384
	global_store_dwordx4 v[10:11], v[70:73], off offset:800
	;; [unrolled: 1-line block ×4, first 2 shown]
	v_add_u32_e32 v0, 0x165, v138
	v_mul_hi_u32 v1, v0, s1
	s_movk_i32 s2, 0x396
	v_lshrrev_b32_e32 v1, 7, v1
	v_mad_u32_u24 v106, v1, s2, v0
	v_lshl_add_u64 v[0:1], v[106:107], 4, v[136:137]
	v_add_co_u32_e32 v2, vcc, s8, v0
	global_store_dwordx4 v[0:1], v[56:59], off
	s_nop 0
	v_addc_co_u32_e32 v3, vcc, 0, v1, vcc
	v_add_co_u32_e32 v0, vcc, 0x3000, v0
	global_store_dwordx4 v[2:3], v[48:51], off offset:3248
	s_nop 0
	v_addc_co_u32_e32 v1, vcc, 0, v1, vcc
	global_store_dwordx4 v[0:1], v[44:47], off offset:2400
	v_mul_hi_u32 v0, v129, s1
	v_lshrrev_b32_e32 v0, 7, v0
	v_mad_u32_u24 v106, v0, s2, v129
	v_lshl_add_u64 v[0:1], v[106:107], 4, v[136:137]
	v_add_co_u32_e32 v2, vcc, 0x1000, v0
	global_store_dwordx4 v[0:1], v[40:43], off
	s_nop 0
	v_addc_co_u32_e32 v3, vcc, 0, v1, vcc
	v_add_co_u32_e32 v0, vcc, 0x3000, v0
	global_store_dwordx4 v[2:3], v[36:39], off offset:3248
	s_nop 0
	v_addc_co_u32_e32 v1, vcc, 0, v1, vcc
	global_store_dwordx4 v[0:1], v[32:35], off offset:2400
.LBB0_19:
	s_endpgm
	.section	.rodata,"a",@progbits
	.p2align	6, 0x0
	.amdhsa_kernel fft_rtc_back_len1377_factors_17_3_9_3_wgs_51_tpt_51_halfLds_dp_ip_CI_unitstride_sbrr_dirReg
		.amdhsa_group_segment_fixed_size 0
		.amdhsa_private_segment_fixed_size 0
		.amdhsa_kernarg_size 88
		.amdhsa_user_sgpr_count 2
		.amdhsa_user_sgpr_dispatch_ptr 0
		.amdhsa_user_sgpr_queue_ptr 0
		.amdhsa_user_sgpr_kernarg_segment_ptr 1
		.amdhsa_user_sgpr_dispatch_id 0
		.amdhsa_user_sgpr_kernarg_preload_length 0
		.amdhsa_user_sgpr_kernarg_preload_offset 0
		.amdhsa_user_sgpr_private_segment_size 0
		.amdhsa_uses_dynamic_stack 0
		.amdhsa_enable_private_segment 0
		.amdhsa_system_sgpr_workgroup_id_x 1
		.amdhsa_system_sgpr_workgroup_id_y 0
		.amdhsa_system_sgpr_workgroup_id_z 0
		.amdhsa_system_sgpr_workgroup_info 0
		.amdhsa_system_vgpr_workitem_id 0
		.amdhsa_next_free_vgpr 228
		.amdhsa_next_free_sgpr 56
		.amdhsa_accum_offset 228
		.amdhsa_reserve_vcc 1
		.amdhsa_float_round_mode_32 0
		.amdhsa_float_round_mode_16_64 0
		.amdhsa_float_denorm_mode_32 3
		.amdhsa_float_denorm_mode_16_64 3
		.amdhsa_dx10_clamp 1
		.amdhsa_ieee_mode 1
		.amdhsa_fp16_overflow 0
		.amdhsa_tg_split 0
		.amdhsa_exception_fp_ieee_invalid_op 0
		.amdhsa_exception_fp_denorm_src 0
		.amdhsa_exception_fp_ieee_div_zero 0
		.amdhsa_exception_fp_ieee_overflow 0
		.amdhsa_exception_fp_ieee_underflow 0
		.amdhsa_exception_fp_ieee_inexact 0
		.amdhsa_exception_int_div_zero 0
	.end_amdhsa_kernel
	.text
.Lfunc_end0:
	.size	fft_rtc_back_len1377_factors_17_3_9_3_wgs_51_tpt_51_halfLds_dp_ip_CI_unitstride_sbrr_dirReg, .Lfunc_end0-fft_rtc_back_len1377_factors_17_3_9_3_wgs_51_tpt_51_halfLds_dp_ip_CI_unitstride_sbrr_dirReg
                                        ; -- End function
	.section	.AMDGPU.csdata,"",@progbits
; Kernel info:
; codeLenInByte = 22300
; NumSgprs: 62
; NumVgprs: 228
; NumAgprs: 0
; TotalNumVgprs: 228
; ScratchSize: 0
; MemoryBound: 1
; FloatMode: 240
; IeeeMode: 1
; LDSByteSize: 0 bytes/workgroup (compile time only)
; SGPRBlocks: 7
; VGPRBlocks: 28
; NumSGPRsForWavesPerEU: 62
; NumVGPRsForWavesPerEU: 228
; AccumOffset: 228
; Occupancy: 2
; WaveLimiterHint : 1
; COMPUTE_PGM_RSRC2:SCRATCH_EN: 0
; COMPUTE_PGM_RSRC2:USER_SGPR: 2
; COMPUTE_PGM_RSRC2:TRAP_HANDLER: 0
; COMPUTE_PGM_RSRC2:TGID_X_EN: 1
; COMPUTE_PGM_RSRC2:TGID_Y_EN: 0
; COMPUTE_PGM_RSRC2:TGID_Z_EN: 0
; COMPUTE_PGM_RSRC2:TIDIG_COMP_CNT: 0
; COMPUTE_PGM_RSRC3_GFX90A:ACCUM_OFFSET: 56
; COMPUTE_PGM_RSRC3_GFX90A:TG_SPLIT: 0
	.text
	.p2alignl 6, 3212836864
	.fill 256, 4, 3212836864
	.type	__hip_cuid_9a25b353c6ce67e6,@object ; @__hip_cuid_9a25b353c6ce67e6
	.section	.bss,"aw",@nobits
	.globl	__hip_cuid_9a25b353c6ce67e6
__hip_cuid_9a25b353c6ce67e6:
	.byte	0                               ; 0x0
	.size	__hip_cuid_9a25b353c6ce67e6, 1

	.ident	"AMD clang version 19.0.0git (https://github.com/RadeonOpenCompute/llvm-project roc-6.4.0 25133 c7fe45cf4b819c5991fe208aaa96edf142730f1d)"
	.section	".note.GNU-stack","",@progbits
	.addrsig
	.addrsig_sym __hip_cuid_9a25b353c6ce67e6
	.amdgpu_metadata
---
amdhsa.kernels:
  - .agpr_count:     0
    .args:
      - .actual_access:  read_only
        .address_space:  global
        .offset:         0
        .size:           8
        .value_kind:     global_buffer
      - .offset:         8
        .size:           8
        .value_kind:     by_value
      - .actual_access:  read_only
        .address_space:  global
        .offset:         16
        .size:           8
        .value_kind:     global_buffer
      - .actual_access:  read_only
        .address_space:  global
        .offset:         24
        .size:           8
        .value_kind:     global_buffer
      - .offset:         32
        .size:           8
        .value_kind:     by_value
      - .actual_access:  read_only
        .address_space:  global
        .offset:         40
        .size:           8
        .value_kind:     global_buffer
      - .actual_access:  read_only
        .address_space:  global
        .offset:         48
        .size:           8
        .value_kind:     global_buffer
      - .offset:         56
        .size:           4
        .value_kind:     by_value
      - .actual_access:  read_only
        .address_space:  global
        .offset:         64
        .size:           8
        .value_kind:     global_buffer
      - .actual_access:  read_only
        .address_space:  global
        .offset:         72
        .size:           8
        .value_kind:     global_buffer
      - .address_space:  global
        .offset:         80
        .size:           8
        .value_kind:     global_buffer
    .group_segment_fixed_size: 0
    .kernarg_segment_align: 8
    .kernarg_segment_size: 88
    .language:       OpenCL C
    .language_version:
      - 2
      - 0
    .max_flat_workgroup_size: 51
    .name:           fft_rtc_back_len1377_factors_17_3_9_3_wgs_51_tpt_51_halfLds_dp_ip_CI_unitstride_sbrr_dirReg
    .private_segment_fixed_size: 0
    .sgpr_count:     62
    .sgpr_spill_count: 0
    .symbol:         fft_rtc_back_len1377_factors_17_3_9_3_wgs_51_tpt_51_halfLds_dp_ip_CI_unitstride_sbrr_dirReg.kd
    .uniform_work_group_size: 1
    .uses_dynamic_stack: false
    .vgpr_count:     228
    .vgpr_spill_count: 0
    .wavefront_size: 64
amdhsa.target:   amdgcn-amd-amdhsa--gfx950
amdhsa.version:
  - 1
  - 2
...

	.end_amdgpu_metadata
